;; amdgpu-corpus repo=ROCm/rocFFT kind=compiled arch=gfx1201 opt=O3
	.text
	.amdgcn_target "amdgcn-amd-amdhsa--gfx1201"
	.amdhsa_code_object_version 6
	.protected	bluestein_single_back_len3600_dim1_half_op_CI_CI ; -- Begin function bluestein_single_back_len3600_dim1_half_op_CI_CI
	.globl	bluestein_single_back_len3600_dim1_half_op_CI_CI
	.p2align	8
	.type	bluestein_single_back_len3600_dim1_half_op_CI_CI,@function
bluestein_single_back_len3600_dim1_half_op_CI_CI: ; @bluestein_single_back_len3600_dim1_half_op_CI_CI
; %bb.0:
	s_load_b128 s[16:19], s[0:1], 0x28
	v_mul_u32_u24_e32 v1, 0x223, v0
	s_mov_b32 s2, exec_lo
	v_mov_b32_e32 v139, 0
	s_delay_alu instid0(VALU_DEP_2) | instskip(NEXT) | instid1(VALU_DEP_1)
	v_lshrrev_b32_e32 v1, 16, v1
	v_add_nc_u32_e32 v138, ttmp9, v1
	s_wait_kmcnt 0x0
	s_delay_alu instid0(VALU_DEP_1)
	v_cmpx_gt_u64_e64 s[16:17], v[138:139]
	s_cbranch_execz .LBB0_2
; %bb.1:
	s_clause 0x1
	s_load_b128 s[8:11], s[0:1], 0x18
	s_load_b128 s[4:7], s[0:1], 0x0
	v_mul_lo_u16 v1, 0x78, v1
	s_load_b64 s[0:1], s[0:1], 0x38
	s_delay_alu instid0(VALU_DEP_1) | instskip(NEXT) | instid1(VALU_DEP_1)
	v_sub_nc_u16 v36, v0, v1
	v_and_b32_e32 v155, 0xffff, v36
	s_delay_alu instid0(VALU_DEP_1)
	v_lshlrev_b32_e32 v134, 2, v155
	s_wait_kmcnt 0x0
	s_load_b128 s[12:15], s[8:9], 0x0
	global_load_b32 v182, v134, s[4:5]
	v_add_nc_u32_e32 v68, 0x3400, v134
	v_add_nc_u32_e32 v115, 0x600, v134
	;; [unrolled: 1-line block ×14, first 2 shown]
	s_wait_kmcnt 0x0
	v_mad_co_u64_u32 v[0:1], null, s14, v138, 0
	v_mad_co_u64_u32 v[2:3], null, s12, v155, 0
	s_mul_u64 s[2:3], s[12:13], 0x5a0
	s_mul_i32 s8, s13, 0xffffcf40
	s_delay_alu instid0(SALU_CYCLE_1) | instskip(NEXT) | instid1(VALU_DEP_1)
	s_sub_co_i32 s8, s8, s12
	v_mad_co_u64_u32 v[4:5], null, s15, v138, v[1:2]
	s_delay_alu instid0(VALU_DEP_1) | instskip(SKIP_1) | instid1(VALU_DEP_1)
	v_mad_co_u64_u32 v[5:6], null, s13, v155, v[3:4]
	v_mov_b32_e32 v1, v4
	v_lshlrev_b64_e32 v[0:1], 2, v[0:1]
	s_delay_alu instid0(VALU_DEP_3) | instskip(NEXT) | instid1(VALU_DEP_1)
	v_mov_b32_e32 v3, v5
	v_lshlrev_b64_e32 v[2:3], 2, v[2:3]
	s_delay_alu instid0(VALU_DEP_3) | instskip(NEXT) | instid1(VALU_DEP_4)
	v_add_co_u32 v28, vcc_lo, s18, v0
	v_add_co_ci_u32_e32 v29, vcc_lo, s19, v1, vcc_lo
	s_delay_alu instid0(VALU_DEP_2) | instskip(SKIP_1) | instid1(VALU_DEP_2)
	v_add_co_u32 v0, vcc_lo, v28, v2
	s_wait_alu 0xfffd
	v_add_co_ci_u32_e32 v1, vcc_lo, v29, v3, vcc_lo
	global_load_b32 v12, v[0:1], off
	v_add_co_u32 v0, vcc_lo, v0, s2
	s_wait_alu 0xfffd
	v_add_co_ci_u32_e32 v1, vcc_lo, s3, v1, vcc_lo
	global_load_b32 v33, v134, s[4:5] offset:1440
	global_load_b32 v13, v[0:1], off
	v_add_co_u32 v0, vcc_lo, v0, s2
	s_wait_alu 0xfffd
	v_add_co_ci_u32_e32 v1, vcc_lo, s3, v1, vcc_lo
	global_load_b32 v34, v134, s[4:5] offset:2880
	;; [unrolled: 5-line block ×3, first 2 shown]
	global_load_b32 v31, v[0:1], off
	v_add_co_u32 v14, vcc_lo, v0, s2
	s_wait_alu 0xfffd
	v_add_co_ci_u32_e32 v15, vcc_lo, s3, v1, vcc_lo
	v_or_b32_e32 v1, 0x780, v155
	s_delay_alu instid0(VALU_DEP_3) | instskip(SKIP_1) | instid1(VALU_DEP_3)
	v_add_co_u32 v16, vcc_lo, v14, s2
	s_wait_alu 0xfffd
	v_add_co_ci_u32_e32 v17, vcc_lo, s3, v15, vcc_lo
	s_delay_alu instid0(VALU_DEP_3) | instskip(NEXT) | instid1(VALU_DEP_3)
	v_mad_co_u64_u32 v[6:7], null, s12, v1, 0
	v_add_co_u32 v18, vcc_lo, v16, s2
	s_wait_alu 0xfffd
	s_delay_alu instid0(VALU_DEP_3)
	v_add_co_ci_u32_e32 v19, vcc_lo, s3, v17, vcc_lo
	scratch_store_b32 off, v1, off offset:180 ; 4-byte Folded Spill
	v_add_co_u32 v20, vcc_lo, v18, s2
	s_wait_alu 0xfffd
	v_add_co_ci_u32_e32 v21, vcc_lo, s3, v19, vcc_lo
	v_mov_b32_e32 v0, v7
	s_delay_alu instid0(VALU_DEP_3) | instskip(SKIP_1) | instid1(VALU_DEP_3)
	v_add_co_u32 v22, vcc_lo, v20, s2
	s_wait_alu 0xfffd
	v_add_co_ci_u32_e32 v23, vcc_lo, s3, v21, vcc_lo
	s_delay_alu instid0(VALU_DEP_3) | instskip(NEXT) | instid1(VALU_DEP_3)
	v_mad_co_u64_u32 v[0:1], null, s13, v1, v[0:1]
	v_add_co_u32 v24, vcc_lo, v22, s2
	s_wait_alu 0xfffd
	s_delay_alu instid0(VALU_DEP_3) | instskip(SKIP_3) | instid1(VALU_DEP_2)
	v_add_co_ci_u32_e32 v25, vcc_lo, s3, v23, vcc_lo
	global_load_b32 v48, v134, s[4:5] offset:480
	v_mov_b32_e32 v7, v0
	v_mad_co_u64_u32 v[26:27], null, 0xffffcf40, s12, v[24:25]
	v_lshlrev_b64_e32 v[10:11], 2, v[6:7]
	s_delay_alu instid0(VALU_DEP_2) | instskip(NEXT) | instid1(VALU_DEP_3)
	v_add_nc_u32_e32 v27, s8, v27
	v_add_co_u32 v8, vcc_lo, v26, s2
	s_wait_alu 0xfffd
	s_delay_alu instid0(VALU_DEP_2) | instskip(NEXT) | instid1(VALU_DEP_2)
	v_add_co_ci_u32_e32 v9, vcc_lo, s3, v27, vcc_lo
	v_add_co_u32 v4, vcc_lo, v8, s2
	s_wait_alu 0xfffd
	s_delay_alu instid0(VALU_DEP_2) | instskip(NEXT) | instid1(VALU_DEP_2)
	v_add_co_ci_u32_e32 v5, vcc_lo, s3, v9, vcc_lo
	;; [unrolled: 4-line block ×3, first 2 shown]
	v_add_co_u32 v0, vcc_lo, v2, s2
	s_wait_alu 0xfffd
	s_delay_alu instid0(VALU_DEP_2) | instskip(SKIP_3) | instid1(VALU_DEP_3)
	v_add_co_ci_u32_e32 v1, vcc_lo, s3, v3, vcc_lo
	v_add_co_u32 v10, vcc_lo, v28, v10
	s_wait_alu 0xfffd
	v_add_co_ci_u32_e32 v11, vcc_lo, v29, v11, vcc_lo
	v_mad_co_u64_u32 v[6:7], null, 0xb40, s12, v[0:1]
	s_clause 0x2
	global_load_b32 v44, v134, s[4:5] offset:1920
	global_load_b32 v46, v134, s[4:5] offset:3360
	;; [unrolled: 1-line block ×3, first 2 shown]
	global_load_b32 v28, v[14:15], off
	global_load_b32 v16, v[16:17], off
	;; [unrolled: 1-line block ×3, first 2 shown]
	global_load_b32 v41, v134, s[4:5] offset:960
	global_load_b32 v18, v[20:21], off
	v_mad_co_u64_u32 v[14:15], null, 0xb40, s13, v[7:8]
	global_load_b32 v15, v[22:23], off
	global_load_b32 v19, v[24:25], off
	;; [unrolled: 1-line block ×3, first 2 shown]
	v_mov_b32_e32 v7, v14
	s_wait_loadcnt 0x13
	v_lshrrev_b32_e32 v29, 16, v182
	s_wait_loadcnt 0x12
	v_lshrrev_b32_e32 v20, 16, v12
	s_delay_alu instid0(VALU_DEP_2) | instskip(NEXT) | instid1(VALU_DEP_2)
	v_mul_f16_e32 v22, v29, v12
	v_mul_f16_e32 v14, v29, v20
	s_wait_loadcnt 0x11
	v_lshrrev_b32_e32 v24, 16, v33
	s_wait_loadcnt 0x10
	v_lshrrev_b32_e32 v23, 16, v13
	v_fma_f16 v20, v182, v20, -v22
	scratch_store_b32 off, v33, off offset:188 ; 4-byte Folded Spill
	v_fmac_f16_e64 v14, v182, v12
	v_mul_f16_e32 v22, v24, v13
	v_mul_f16_e32 v12, v24, v23
	s_wait_loadcnt 0xf
	s_clause 0x1
	scratch_store_b32 off, v34, off offset:192
	scratch_store_b32 off, v24, off offset:184
	v_pack_b32_f16 v14, v14, v20
	v_fma_f16 v22, v33, v23, -v22
	v_lshrrev_b32_e32 v23, 16, v34
	v_fmac_f16_e32 v12, v33, v13
	s_wait_loadcnt 0xe
	v_lshrrev_b32_e32 v13, 16, v30
	s_wait_loadcnt 0xd
	v_lshrrev_b32_e32 v25, 16, v32
	v_mul_f16_e32 v20, v23, v30
	v_pack_b32_f16 v12, v12, v22
	s_wait_loadcnt 0xc
	s_delay_alu instid0(VALU_DEP_3) | instskip(NEXT) | instid1(VALU_DEP_3)
	v_mul_f16_e32 v24, v25, v31
	v_fma_f16 v20, v34, v13, -v20
	v_mul_f16_e32 v13, v23, v13
	v_lshrrev_b32_e32 v23, 16, v31
	s_delay_alu instid0(VALU_DEP_2)
	v_fmac_f16_e32 v13, v34, v30
	s_clause 0x6
	global_load_b32 v45, v134, s[4:5] offset:4800
	global_load_b32 v47, v134, s[4:5] offset:6240
	;; [unrolled: 1-line block ×7, first 2 shown]
	s_clause 0x1
	scratch_store_b32 off, v32, off offset:172
	scratch_store_b32 off, v25, off offset:168
	v_fma_f16 v24, v32, v23, -v24
	v_mul_f16_e32 v23, v25, v23
	v_pack_b32_f16 v13, v13, v20
	s_delay_alu instid0(VALU_DEP_2)
	v_fmac_f16_e32 v23, v32, v31
	s_clause 0x5
	global_load_b32 v159, v134, s[4:5] offset:8640
	global_load_b32 v43, v134, s[4:5] offset:9120
	;; [unrolled: 1-line block ×6, first 2 shown]
	s_wait_loadcnt 0x14
	v_lshrrev_b32_e32 v25, 16, v28
	s_wait_loadcnt 0x7
	v_lshrrev_b32_e32 v27, 16, v151
	;; [unrolled: 2-line block ×3, first 2 shown]
	s_delay_alu instid0(VALU_DEP_2) | instskip(NEXT) | instid1(VALU_DEP_1)
	v_mul_f16_e32 v26, v27, v28
	v_fma_f16 v26, v151, v25, -v26
	v_mul_f16_e32 v25, v27, v25
	v_lshrrev_b32_e32 v27, 16, v16
	s_delay_alu instid0(VALU_DEP_2) | instskip(SKIP_1) | instid1(VALU_DEP_2)
	v_fmac_f16_e64 v25, v151, v28
	v_mul_f16_e32 v28, v29, v16
	v_pack_b32_f16 v20, v25, v26
	s_delay_alu instid0(VALU_DEP_2) | instskip(SKIP_3) | instid1(VALU_DEP_2)
	v_fma_f16 v28, v157, v27, -v28
	v_mul_f16_e32 v27, v29, v27
	s_wait_loadcnt 0x5
	v_lshrrev_b32_e32 v25, 16, v159
	v_fmac_f16_e64 v27, v157, v16
	v_pack_b32_f16 v16, v23, v24
	v_lshrrev_b32_e32 v23, 16, v17
	s_delay_alu instid0(VALU_DEP_4) | instskip(NEXT) | instid1(VALU_DEP_4)
	v_mul_f16_e32 v24, v25, v17
	v_pack_b32_f16 v22, v27, v28
	s_clause 0x1
	global_load_b32 v27, v134, s[4:5] offset:10080
	global_load_b32 v28, v134, s[4:5] offset:11520
	v_fma_f16 v24, v159, v23, -v24
	v_mul_f16_e32 v23, v25, v23
	s_delay_alu instid0(VALU_DEP_1)
	v_fmac_f16_e64 v23, v159, v17
	v_lshrrev_b32_e32 v17, 16, v18
	s_wait_loadcnt 0x1
	v_lshrrev_b32_e32 v26, 16, v27
	scratch_store_b32 off, v27, off offset:196 ; 4-byte Folded Spill
	s_wait_loadcnt 0x0
	scratch_store_b32 off, v28, off offset:176 ; 4-byte Folded Spill
	s_clause 0x3
	global_load_b32 v42, v134, s[4:5] offset:12000
	global_load_b32 v37, v134, s[4:5] offset:13440
	;; [unrolled: 1-line block ×4, first 2 shown]
	v_mul_f16_e32 v25, v26, v18
	s_delay_alu instid0(VALU_DEP_1) | instskip(SKIP_1) | instid1(VALU_DEP_1)
	v_fma_f16 v25, v27, v17, -v25
	v_mul_f16_e32 v17, v26, v17
	v_fmac_f16_e32 v17, v27, v18
	v_lshrrev_b32_e32 v27, 16, v28
	v_lshrrev_b32_e32 v18, 16, v15
	s_delay_alu instid0(VALU_DEP_3) | instskip(NEXT) | instid1(VALU_DEP_3)
	v_pack_b32_f16 v17, v17, v25
	v_mul_f16_e32 v26, v27, v15
	v_lshrrev_b32_e32 v25, 16, v39
	s_delay_alu instid0(VALU_DEP_2) | instskip(SKIP_1) | instid1(VALU_DEP_1)
	v_fma_f16 v26, v28, v18, -v26
	v_mul_f16_e32 v18, v27, v18
	v_fmac_f16_e32 v18, v28, v15
	global_load_b32 v28, v134, s[4:5] offset:12960
	v_lshrrev_b32_e32 v15, 16, v19
	v_pack_b32_f16 v18, v18, v26
	s_wait_loadcnt 0x0
	v_lshrrev_b32_e32 v49, 16, v28
	s_clause 0x1
	scratch_store_b32 off, v28, off offset:152
	scratch_store_b32 off, v49, off offset:156
	v_mul_f16_e32 v27, v49, v19
	s_delay_alu instid0(VALU_DEP_1)
	v_fma_f16 v27, v28, v15, -v27
	v_mul_f16_e32 v15, v49, v15
	v_lshrrev_b32_e32 v49, 16, v48
	scratch_store_b32 off, v48, off offset:160 ; 4-byte Folded Spill
	v_fmac_f16_e32 v15, v28, v19
	scratch_store_b32 off, v49, off offset:164 ; 4-byte Folded Spill
	v_lshrrev_b32_e32 v19, 16, v21
	v_mul_f16_e32 v28, v49, v21
	v_pack_b32_f16 v15, v15, v27
	s_delay_alu instid0(VALU_DEP_2) | instskip(SKIP_1) | instid1(VALU_DEP_1)
	v_fma_f16 v28, v48, v19, -v28
	v_mul_f16_e32 v19, v49, v19
	v_fmac_f16_e32 v19, v48, v21
	v_pack_b32_f16 v21, v23, v24
	v_lshrrev_b32_e32 v24, 16, v44
	s_delay_alu instid0(VALU_DEP_3)
	v_pack_b32_f16 v19, v19, v28
	ds_store_b32 v134, v12 offset:1440
	ds_store_b32 v134, v13 offset:2880
	;; [unrolled: 1-line block ×9, first 2 shown]
	ds_store_2addr_b32 v134, v14, v19 offset1:120
	global_load_b32 v22, v[8:9], off
	v_add_co_u32 v8, vcc_lo, v6, s2
	s_wait_alu 0xfffd
	v_add_co_ci_u32_e32 v9, vcc_lo, s3, v7, vcc_lo
	scratch_store_b32 off, v24, off offset:140 ; 4-byte Folded Spill
	v_add_co_u32 v12, vcc_lo, v8, s2
	s_wait_alu 0xfffd
	v_add_co_ci_u32_e32 v13, vcc_lo, s3, v9, vcc_lo
	scratch_store_b32 off, v25, off offset:68 ; 4-byte Folded Spill
	;; [unrolled: 4-line block ×3, first 2 shown]
	v_mad_co_u64_u32 v[16:17], null, 0xffffcf40, s12, v[14:15]
	s_mov_b32 s12, 0x789abcdf
	s_mov_b32 s13, 0x3f323456
	s_delay_alu instid0(VALU_DEP_1) | instskip(NEXT) | instid1(VALU_DEP_2)
	v_add_nc_u32_e32 v17, s8, v17
	v_add_co_u32 v18, vcc_lo, v16, s2
	s_wait_alu 0xfffd
	s_delay_alu instid0(VALU_DEP_2) | instskip(NEXT) | instid1(VALU_DEP_2)
	v_add_co_ci_u32_e32 v19, vcc_lo, s3, v17, vcc_lo
	v_add_co_u32 v20, vcc_lo, v18, s2
	global_load_b32 v18, v[18:19], off
	s_wait_alu 0xfffd
	v_add_co_ci_u32_e32 v21, vcc_lo, s3, v19, vcc_lo
	s_wait_loadcnt 0x1
	v_lshrrev_b32_e32 v19, 16, v22
	v_mul_f16_e32 v23, v24, v22
	s_delay_alu instid0(VALU_DEP_1) | instskip(SKIP_1) | instid1(VALU_DEP_1)
	v_fma_f16 v23, v44, v19, -v23
	v_mul_f16_e32 v19, v24, v19
	v_fmac_f16_e32 v19, v44, v22
	s_wait_loadcnt 0x0
	v_lshrrev_b32_e32 v22, 16, v18
	v_mul_f16_e32 v24, v25, v18
	s_delay_alu instid0(VALU_DEP_1) | instskip(SKIP_1) | instid1(VALU_DEP_1)
	v_fma_f16 v24, v39, v22, -v24
	v_mul_f16_e32 v22, v25, v22
	v_fmac_f16_e32 v22, v39, v18
	v_pack_b32_f16 v18, v19, v23
	v_lshrrev_b32_e32 v23, 16, v38
	s_delay_alu instid0(VALU_DEP_3)
	v_pack_b32_f16 v19, v22, v24
	v_lshrrev_b32_e32 v22, 16, v46
	scratch_store_b32 off, v23, off offset:60 ; 4-byte Folded Spill
	ds_store_2addr_b32 v115, v18, v19 offset0:96 offset1:216
	global_load_b32 v18, v[4:5], off
	global_load_b32 v19, v[20:21], off
	v_add_co_u32 v4, vcc_lo, v20, s2
	s_wait_alu 0xfffd
	v_add_co_ci_u32_e32 v5, vcc_lo, s3, v21, vcc_lo
	scratch_store_b32 off, v22, off offset:148 ; 4-byte Folded Spill
	s_wait_loadcnt 0x1
	v_lshrrev_b32_e32 v20, 16, v18
	v_mul_f16_e32 v21, v22, v18
	s_delay_alu instid0(VALU_DEP_1) | instskip(SKIP_3) | instid1(VALU_DEP_2)
	v_fma_f16 v21, v46, v20, -v21
	v_mul_f16_e32 v20, v22, v20
	s_wait_loadcnt 0x0
	v_mul_f16_e32 v22, v23, v19
	v_fmac_f16_e32 v20, v46, v18
	v_lshrrev_b32_e32 v18, 16, v19
	s_delay_alu instid0(VALU_DEP_1) | instskip(SKIP_1) | instid1(VALU_DEP_1)
	v_fma_f16 v22, v38, v18, -v22
	v_mul_f16_e32 v18, v23, v18
	v_fmac_f16_e32 v18, v38, v19
	v_pack_b32_f16 v19, v20, v21
	v_add_nc_u32_e32 v20, 0xc00, v134
	v_lshrrev_b32_e32 v21, 16, v35
	s_delay_alu instid0(VALU_DEP_4)
	v_pack_b32_f16 v18, v18, v22
	scratch_store_b32 off, v21, off offset:52 ; 4-byte Folded Spill
	ds_store_2addr_b32 v20, v19, v18 offset0:72 offset1:192
	global_load_b32 v18, v[2:3], off
	v_add_co_u32 v2, vcc_lo, v4, s2
	global_load_b32 v4, v[4:5], off
	v_lshrrev_b32_e32 v20, 16, v45
	s_wait_alu 0xfffd
	v_add_co_ci_u32_e32 v3, vcc_lo, s3, v5, vcc_lo
	s_clause 0x1
	scratch_store_b32 off, v45, off offset:120
	scratch_store_b32 off, v20, off offset:124
	s_wait_loadcnt 0x1
	v_lshrrev_b32_e32 v5, 16, v18
	v_mul_f16_e32 v19, v20, v18
	s_delay_alu instid0(VALU_DEP_1) | instskip(SKIP_3) | instid1(VALU_DEP_2)
	v_fma_f16 v19, v45, v5, -v19
	v_mul_f16_e32 v5, v20, v5
	s_wait_loadcnt 0x0
	v_mul_f16_e32 v20, v21, v4
	v_fmac_f16_e32 v5, v45, v18
	v_lshrrev_b32_e32 v18, 16, v4
	s_delay_alu instid0(VALU_DEP_1) | instskip(SKIP_1) | instid1(VALU_DEP_1)
	v_fma_f16 v20, v35, v18, -v20
	v_mul_f16_e32 v18, v21, v18
	v_fmac_f16_e32 v18, v35, v4
	v_pack_b32_f16 v4, v5, v19
	v_lshrrev_b32_e32 v19, 16, v34
	s_clause 0x1
	scratch_store_b32 off, v34, off offset:40
	scratch_store_b32 off, v35, off offset:48
	v_pack_b32_f16 v5, v18, v20
	v_lshrrev_b32_e32 v18, 16, v47
	s_clause 0x2
	scratch_store_b32 off, v47, off offset:128
	scratch_store_b32 off, v44, off offset:136
	;; [unrolled: 1-line block ×3, first 2 shown]
	ds_store_2addr_b32 v114, v4, v5 offset0:48 offset1:168
	global_load_b32 v4, v[0:1], off
	v_add_co_u32 v0, vcc_lo, v2, s2
	global_load_b32 v2, v[2:3], off
	s_wait_alu 0xfffd
	v_add_co_ci_u32_e32 v1, vcc_lo, s3, v3, vcc_lo
	s_clause 0x2
	scratch_store_b32 off, v18, off offset:132
	scratch_store_b32 off, v39, off offset:64
	;; [unrolled: 1-line block ×3, first 2 shown]
	s_wait_loadcnt 0x1
	v_lshrrev_b32_e32 v3, 16, v4
	v_mul_f16_e32 v5, v18, v4
	s_delay_alu instid0(VALU_DEP_1) | instskip(SKIP_3) | instid1(VALU_DEP_2)
	v_fma_f16 v5, v47, v3, -v5
	v_mul_f16_e32 v3, v18, v3
	s_wait_loadcnt 0x0
	v_mul_f16_e32 v18, v19, v2
	v_fmac_f16_e32 v3, v47, v4
	v_lshrrev_b32_e32 v4, 16, v2
	s_delay_alu instid0(VALU_DEP_1) | instskip(SKIP_1) | instid1(VALU_DEP_1)
	v_fma_f16 v18, v34, v4, -v18
	v_mul_f16_e32 v4, v19, v4
	v_fmac_f16_e32 v4, v34, v2
	v_pack_b32_f16 v2, v3, v5
	s_delay_alu instid0(VALU_DEP_2)
	v_pack_b32_f16 v3, v4, v18
	v_add_nc_u32_e32 v4, 0x1800, v134
	ds_store_2addr_b32 v4, v2, v3 offset0:24 offset1:144
	global_load_b32 v4, v[10:11], off
	v_add_co_u32 v2, vcc_lo, v0, s2
	global_load_b32 v0, v[0:1], off
	global_load_b32 v10, v134, s[4:5] offset:7680
	s_wait_alu 0xfffd
	v_add_co_ci_u32_e32 v3, vcc_lo, s3, v1, vcc_lo
	s_clause 0x1
	scratch_store_b32 off, v40, off offset:88
	scratch_store_b32 off, v42, off offset:104
	s_wait_loadcnt 0x2
	v_lshrrev_b32_e32 v1, 16, v4
	s_wait_loadcnt 0x0
	v_lshrrev_b32_e32 v11, 16, v10
	s_clause 0x1
	scratch_store_b32 off, v10, off offset:112
	scratch_store_b32 off, v11, off offset:116
	v_mul_f16_e32 v5, v11, v4
	s_delay_alu instid0(VALU_DEP_1) | instskip(SKIP_2) | instid1(VALU_DEP_2)
	v_fma_f16 v5, v10, v1, -v5
	v_mul_f16_e32 v1, v11, v1
	v_lshrrev_b32_e32 v11, 16, v33
	v_fmac_f16_e32 v1, v10, v4
	v_lshrrev_b32_e32 v4, 16, v0
	s_delay_alu instid0(VALU_DEP_3) | instskip(NEXT) | instid1(VALU_DEP_1)
	v_mul_f16_e32 v10, v11, v0
	v_fma_f16 v10, v33, v4, -v10
	v_mul_f16_e32 v4, v11, v4
	s_delay_alu instid0(VALU_DEP_1) | instskip(SKIP_1) | instid1(VALU_DEP_2)
	v_fmac_f16_e32 v4, v33, v0
	v_pack_b32_f16 v0, v1, v5
	v_pack_b32_f16 v1, v4, v10
	global_load_b32 v4, v[6:7], off
	v_lshrrev_b32_e32 v6, 16, v43
	v_lshrrev_b32_e32 v7, 16, v32
	ds_store_2addr_b32 v125, v0, v1 offset0:128 offset1:248
	v_add_co_u32 v0, vcc_lo, v2, s2
	global_load_b32 v2, v[2:3], off
	s_wait_alu 0xfffd
	v_add_co_ci_u32_e32 v1, vcc_lo, s3, v3, vcc_lo
	s_clause 0x1
	scratch_store_b32 off, v7, off offset:28
	scratch_store_b32 off, v6, off offset:100
	s_wait_loadcnt 0x1
	v_lshrrev_b32_e32 v3, 16, v4
	v_mul_f16_e32 v5, v6, v4
	s_delay_alu instid0(VALU_DEP_1) | instskip(SKIP_3) | instid1(VALU_DEP_2)
	v_fma_f16 v5, v43, v3, -v5
	v_mul_f16_e32 v3, v6, v3
	s_wait_loadcnt 0x0
	v_mul_f16_e32 v6, v7, v2
	v_fmac_f16_e32 v3, v43, v4
	v_lshrrev_b32_e32 v4, 16, v2
	s_delay_alu instid0(VALU_DEP_1) | instskip(SKIP_2) | instid1(VALU_DEP_2)
	v_fma_f16 v6, v32, v4, -v6
	v_mul_f16_e32 v4, v7, v4
	v_lshrrev_b32_e32 v7, 16, v31
	v_fmac_f16_e32 v4, v32, v2
	v_pack_b32_f16 v2, v3, v5
	scratch_store_b32 off, v7, off offset:20 ; 4-byte Folded Spill
	v_pack_b32_f16 v3, v4, v6
	v_add_nc_u32_e32 v4, 0x2200, v134
	v_lshrrev_b32_e32 v6, 16, v40
	scratch_store_b32 off, v33, off offset:32 ; 4-byte Folded Spill
	ds_store_2addr_b32 v4, v2, v3 offset0:104 offset1:224
	scratch_store_b32 off, v6, off offset:92 ; 4-byte Folded Spill
	global_load_b32 v4, v[8:9], off
	v_add_co_u32 v2, vcc_lo, v0, s2
	global_load_b32 v0, v[0:1], off
	s_wait_alu 0xfffd
	v_add_co_ci_u32_e32 v3, vcc_lo, s3, v1, vcc_lo
	s_wait_loadcnt 0x1
	v_lshrrev_b32_e32 v1, 16, v4
	v_mul_f16_e32 v5, v6, v4
	s_delay_alu instid0(VALU_DEP_1) | instskip(SKIP_3) | instid1(VALU_DEP_2)
	v_fma_f16 v5, v40, v1, -v5
	v_mul_f16_e32 v1, v6, v1
	s_wait_loadcnt 0x0
	v_mul_f16_e32 v6, v7, v0
	v_fmac_f16_e32 v1, v40, v4
	v_lshrrev_b32_e32 v4, 16, v0
	s_delay_alu instid0(VALU_DEP_1)
	v_fma_f16 v6, v31, v4, -v6
	v_mul_f16_e32 v4, v7, v4
	v_lshrrev_b32_e32 v7, 16, v30
	s_clause 0x4
	scratch_store_b32 off, v30, off offset:8
	scratch_store_b32 off, v11, off offset:36
	;; [unrolled: 1-line block ×5, first 2 shown]
	v_fmac_f16_e32 v4, v31, v0
	v_pack_b32_f16 v0, v1, v5
	s_delay_alu instid0(VALU_DEP_2)
	v_pack_b32_f16 v1, v4, v6
	global_load_b32 v4, v[12:13], off
	v_lshrrev_b32_e32 v6, 16, v42
	scratch_store_b32 off, v43, off offset:96 ; 4-byte Folded Spill
	ds_store_2addr_b32 v107, v0, v1 offset0:80 offset1:200
	v_add_co_u32 v0, vcc_lo, v2, s2
	scratch_store_b32 off, v6, off offset:108 ; 4-byte Folded Spill
	global_load_b32 v2, v[2:3], off
	s_wait_alu 0xfffd
	v_add_co_ci_u32_e32 v1, vcc_lo, s3, v3, vcc_lo
	v_cmp_gt_u16_e32 vcc_lo, 0x64, v36
	s_wait_loadcnt 0x1
	v_lshrrev_b32_e32 v3, 16, v4
	v_mul_f16_e32 v5, v6, v4
	s_delay_alu instid0(VALU_DEP_1) | instskip(SKIP_3) | instid1(VALU_DEP_2)
	v_fma_f16 v5, v42, v3, -v5
	v_mul_f16_e32 v3, v6, v3
	s_wait_loadcnt 0x0
	v_mul_f16_e32 v6, v7, v2
	v_fmac_f16_e32 v3, v42, v4
	v_lshrrev_b32_e32 v4, 16, v2
	s_delay_alu instid0(VALU_DEP_1) | instskip(SKIP_1) | instid1(VALU_DEP_1)
	v_fma_f16 v6, v30, v4, -v6
	v_mul_f16_e32 v4, v7, v4
	v_fmac_f16_e32 v4, v30, v2
	v_pack_b32_f16 v2, v3, v5
	v_lshrrev_b32_e32 v5, 16, v29
	s_delay_alu instid0(VALU_DEP_3)
	v_pack_b32_f16 v3, v4, v6
	v_add_nc_u32_e32 v4, 0x2e00, v134
	ds_store_2addr_b32 v4, v2, v3 offset0:56 offset1:176
	global_load_b32 v2, v[14:15], off
	global_load_b32 v0, v[0:1], off
	v_lshrrev_b32_e32 v4, 16, v37
	s_clause 0x2
	scratch_store_b32 off, v29, off
	scratch_store_b32 off, v5, off offset:4
	scratch_store_b32 off, v37, off offset:72
	s_load_b128 s[8:11], s[10:11], 0x0
	scratch_store_b32 off, v4, off offset:76 ; 4-byte Folded Spill
	s_wait_loadcnt 0x1
	v_lshrrev_b32_e32 v1, 16, v2
	v_mul_f16_e32 v3, v4, v2
	s_delay_alu instid0(VALU_DEP_1) | instskip(SKIP_3) | instid1(VALU_DEP_2)
	v_fma_f16 v3, v37, v1, -v3
	v_mul_f16_e32 v1, v4, v1
	s_wait_loadcnt 0x0
	v_mul_f16_e32 v4, v5, v0
	v_fmac_f16_e32 v1, v37, v2
	v_lshrrev_b32_e32 v2, 16, v0
	s_delay_alu instid0(VALU_DEP_1) | instskip(SKIP_1) | instid1(VALU_DEP_1)
	v_fma_f16 v4, v29, v2, -v4
	v_mul_f16_e32 v2, v5, v2
	v_fmac_f16_e32 v2, v29, v0
	v_pack_b32_f16 v0, v1, v3
	v_lshrrev_b32_e32 v3, 16, v41
	scratch_store_b32 off, v41, off offset:80 ; 4-byte Folded Spill
	v_pack_b32_f16 v1, v2, v4
	scratch_store_b32 off, v3, off offset:84 ; 4-byte Folded Spill
	ds_store_2addr_b32 v68, v0, v1 offset0:32 offset1:152
	global_load_b32 v0, v[16:17], off
	s_wait_loadcnt 0x0
	v_lshrrev_b32_e32 v1, 16, v0
	v_mul_f16_e32 v2, v3, v0
	s_delay_alu instid0(VALU_DEP_1) | instskip(SKIP_1) | instid1(VALU_DEP_1)
	v_fma_f16 v2, v41, v1, -v2
	v_mul_f16_e32 v1, v3, v1
	v_fmac_f16_e32 v1, v41, v0
	s_delay_alu instid0(VALU_DEP_1)
	v_pack_b32_f16 v0, v1, v2
	ds_store_b32 v134, v0 offset:960
	global_wb scope:SCOPE_SE
	s_wait_storecnt_dscnt 0x0
	s_wait_kmcnt 0x0
	s_barrier_signal -1
	s_barrier_wait -1
	global_inv scope:SCOPE_SE
	ds_load_2addr_b32 v[12:13], v152 offset0:80 offset1:200
	ds_load_2addr_b32 v[14:15], v140 offset0:32 offset1:152
	;; [unrolled: 1-line block ×8, first 2 shown]
	s_wait_dscnt 0x7
	v_lshrrev_b32_e32 v30, 16, v12
	s_wait_dscnt 0x6
	v_sub_f16_e32 v0, v12, v14
	s_wait_dscnt 0x4
	v_sub_f16_e32 v1, v16, v18
	v_lshrrev_b32_e32 v32, 16, v14
	v_lshrrev_b32_e32 v31, 16, v18
	;; [unrolled: 1-line block ×3, first 2 shown]
	s_wait_dscnt 0x3
	v_lshrrev_b32_e32 v34, 16, v9
	v_add_f16_e32 v20, v0, v1
	s_wait_dscnt 0x2
	v_sub_f16_e32 v0, v9, v7
	s_wait_dscnt 0x0
	v_sub_f16_e32 v1, v3, v5
	v_lshrrev_b32_e32 v37, 16, v7
	v_lshrrev_b32_e32 v35, 16, v5
	;; [unrolled: 1-line block ×3, first 2 shown]
	v_add_f16_e32 v10, v7, v5
	v_add_f16_e32 v21, v0, v1
	v_sub_f16_e32 v0, v30, v32
	v_sub_f16_e32 v1, v33, v31
	;; [unrolled: 1-line block ×6, first 2 shown]
	v_add_f16_e32 v22, v0, v1
	v_sub_f16_e32 v0, v34, v37
	v_sub_f16_e32 v1, v38, v35
	v_add_f16_e32 v40, v14, v18
	v_sub_f16_e32 v51, v14, v18
	v_sub_f16_e32 v49, v30, v33
	;; [unrolled: 1-line block ×3, first 2 shown]
	v_add_f16_e32 v23, v0, v1
	ds_load_2addr_b32 v[0:1], v154 offset0:112 offset1:232
	s_wait_dscnt 0x0
	v_fma_f16 v24, -0.5, v10, v1
	v_lshrrev_b32_e32 v39, 16, v1
	v_add_f16_e32 v10, v37, v35
	s_delay_alu instid0(VALU_DEP_2) | instskip(NEXT) | instid1(VALU_DEP_2)
	v_add_f16_e32 v48, v39, v34
	v_fma_f16 v25, -0.5, v10, v39
	v_fmamk_f16 v10, v27, 0x3b9c, v24
	v_fmac_f16_e32 v24, 0xbb9c, v27
	s_delay_alu instid0(VALU_DEP_4) | instskip(NEXT) | instid1(VALU_DEP_4)
	v_add_f16_e32 v48, v48, v37
	v_fmamk_f16 v11, v28, 0xbb9c, v25
	s_delay_alu instid0(VALU_DEP_4)
	v_fmac_f16_e32 v10, 0x38b4, v26
	v_fmac_f16_e32 v25, 0x3b9c, v28
	;; [unrolled: 1-line block ×3, first 2 shown]
	v_add_f16_e32 v56, v48, v35
	v_fmac_f16_e32 v11, 0xb8b4, v29
	v_fmac_f16_e32 v10, 0x34f2, v21
	;; [unrolled: 1-line block ×4, first 2 shown]
	s_delay_alu instid0(VALU_DEP_4) | instskip(NEXT) | instid1(VALU_DEP_4)
	v_fmac_f16_e32 v11, 0x34f2, v23
	v_mul_f16_e32 v43, 0x3a79, v10
	v_mul_f16_e32 v44, 0xb8b4, v10
	v_fmac_f16_e32 v25, 0x34f2, v23
	s_delay_alu instid0(VALU_DEP_3) | instskip(NEXT) | instid1(VALU_DEP_3)
	v_fmac_f16_e32 v43, 0x38b4, v11
	v_fmac_f16_e32 v44, 0x3a79, v11
	ds_load_2addr_b32 v[10:11], v134 offset1:120
	s_wait_dscnt 0x0
	v_add_f16_e32 v41, v10, v12
	v_fma_f16 v40, -0.5, v40, v10
	s_delay_alu instid0(VALU_DEP_2)
	v_add_f16_e32 v45, v41, v14
	v_add_f16_e32 v41, v1, v9
	v_sub_f16_e32 v14, v14, v12
	v_add_f16_e32 v12, v12, v16
	v_fmamk_f16 v53, v49, 0x3b9c, v40
	v_add_f16_e32 v45, v45, v18
	v_add_f16_e32 v46, v41, v7
	v_lshrrev_b32_e32 v41, 16, v10
	v_sub_f16_e32 v18, v18, v16
	v_sub_f16_e32 v7, v7, v9
	v_fma_f16 v12, -0.5, v12, v10
	v_add_f16_e32 v50, v46, v5
	v_add_f16_e32 v42, v41, v30
	v_sub_f16_e32 v5, v5, v3
	v_add_f16_e32 v14, v14, v18
	v_sub_f16_e32 v18, v32, v30
	v_add_f16_e32 v30, v30, v33
	v_add_f16_e32 v47, v42, v32
	;; [unrolled: 1-line block ×4, first 2 shown]
	v_sub_f16_e32 v46, v32, v31
	v_sub_f16_e32 v32, v37, v34
	v_add_f16_e32 v55, v47, v31
	v_add_f16_e32 v47, v50, v3
	;; [unrolled: 1-line block ×3, first 2 shown]
	v_fma_f16 v42, -0.5, v42, v41
	v_fmac_f16_e32 v41, -0.5, v30
	v_add_f16_e32 v48, v55, v33
	v_sub_f16_e32 v31, v31, v33
	v_fma_f16 v1, -0.5, v3, v1
	v_add_f16_e32 v33, v34, v38
	v_sub_f16_e32 v34, v35, v38
	v_fmamk_f16 v10, v46, 0xbb9c, v12
	v_add_f16_e32 v7, v18, v31
	v_fmamk_f16 v3, v26, 0xbb9c, v1
	v_fmac_f16_e32 v1, 0x3b9c, v26
	v_fmac_f16_e32 v39, -0.5, v33
	v_add_f16_e32 v18, v32, v34
	v_fmac_f16_e32 v12, 0x3b9c, v46
	v_fmac_f16_e32 v3, 0x38b4, v27
	;; [unrolled: 1-line block ×3, first 2 shown]
	v_add_f16_e32 v45, v45, v16
	v_fmac_f16_e32 v10, 0x38b4, v49
	v_fmac_f16_e32 v12, 0xb8b4, v49
	;; [unrolled: 1-line block ×4, first 2 shown]
	v_fmamk_f16 v5, v51, 0x3b9c, v41
	v_fmac_f16_e32 v41, 0xbb9c, v51
	v_fmac_f16_e32 v10, 0x34f2, v14
	;; [unrolled: 1-line block ×3, first 2 shown]
	v_mul_f16_e32 v14, 0xb4f2, v1
	v_fmac_f16_e32 v5, 0xb8b4, v52
	v_fmac_f16_e32 v41, 0x38b4, v52
	v_fmamk_f16 v54, v52, 0xbb9c, v42
	v_fmac_f16_e32 v53, 0x38b4, v46
	v_fmac_f16_e32 v40, 0xbb9c, v49
	;; [unrolled: 1-line block ×4, first 2 shown]
	v_fmamk_f16 v7, v29, 0x3b9c, v39
	v_fmac_f16_e32 v39, 0xbb9c, v29
	v_fmac_f16_e32 v54, 0xb8b4, v51
	;; [unrolled: 1-line block ×7, first 2 shown]
	v_add_f16_e32 v50, v56, v38
	v_fmac_f16_e32 v40, 0xb8b4, v46
	v_fmac_f16_e32 v7, 0x34f2, v18
	;; [unrolled: 1-line block ×4, first 2 shown]
	v_add_f16_e32 v55, v45, v47
	v_fmac_f16_e32 v40, 0x34f2, v20
	v_add_f16_e32 v56, v48, v50
	v_mul_f16_e32 v16, 0xb4f2, v39
	v_fmac_f16_e32 v14, 0x3b9c, v39
	v_fmac_f16_e32 v42, 0x34f2, v22
	v_add_f16_e32 v57, v54, v44
	v_pack_b32_f16 v55, v55, v56
	v_fmac_f16_e32 v16, 0xbb9c, v1
	v_mul_f16_e32 v1, 0xbb9c, v3
	v_add_f16_e32 v56, v53, v43
	v_sub_f16_e32 v18, v19, v17
	s_delay_alu instid0(VALU_DEP_4) | instskip(NEXT) | instid1(VALU_DEP_4)
	v_add_f16_e32 v9, v41, v16
	v_fmac_f16_e32 v1, 0x34f2, v7
	v_mul_f16_e32 v7, 0x3b9c, v7
	v_pack_b32_f16 v56, v56, v57
	s_delay_alu instid0(VALU_DEP_2) | instskip(SKIP_1) | instid1(VALU_DEP_1)
	v_fmac_f16_e32 v7, 0x34f2, v3
	v_add_f16_e32 v3, v12, v14
	v_pack_b32_f16 v31, v3, v9
	v_add_f16_e32 v3, v5, v1
	s_delay_alu instid0(VALU_DEP_4) | instskip(SKIP_3) | instid1(VALU_DEP_4)
	v_add_f16_e32 v9, v10, v7
	v_sub_f16_e32 v1, v5, v1
	v_sub_f16_e32 v5, v10, v7
	v_mul_f16_e32 v7, 0xba79, v25
	v_pack_b32_f16 v30, v9, v3
	v_sub_f16_e32 v3, v53, v43
	v_sub_f16_e32 v9, v54, v44
	v_pack_b32_f16 v33, v5, v1
	v_mul_f16_e32 v5, 0xba79, v24
	v_sub_f16_e32 v1, v45, v47
	v_fmac_f16_e32 v7, 0xb8b4, v24
	v_pack_b32_f16 v32, v3, v9
	v_sub_f16_e32 v3, v48, v50
	v_fmac_f16_e32 v5, 0x38b4, v25
	ds_load_2addr_b32 v[9:10], v115 offset0:96 offset1:216
	ds_load_2addr_b32 v[22:23], v114 offset0:48 offset1:168
	ds_load_2addr_b32 v[24:25], v125 offset0:128 offset1:248
	ds_load_2addr_b32 v[26:27], v107 offset0:80 offset1:200
	ds_load_2addr_b32 v[28:29], v68 offset0:32 offset1:152
	global_wb scope:SCOPE_SE
	s_wait_dscnt 0x0
	s_barrier_signal -1
	v_pack_b32_f16 v21, v1, v3
	v_add_f16_e32 v1, v40, v5
	v_add_f16_e32 v3, v42, v7
	s_barrier_wait -1
	global_inv scope:SCOPE_SE
	v_pack_b32_f16 v20, v1, v3
	v_mul_lo_u16 v1, v36, 10
	v_sub_f16_e32 v3, v40, v5
	v_sub_f16_e32 v5, v42, v7
	;; [unrolled: 1-line block ×4, first 2 shown]
	v_and_b32_e32 v1, 0xffff, v1
	v_lshrrev_b32_e32 v41, 16, v22
	v_lshrrev_b32_e32 v38, 16, v24
	;; [unrolled: 1-line block ×4, first 2 shown]
	v_lshlrev_b32_e32 v161, 2, v1
	v_sub_f16_e32 v1, v12, v14
	ds_store_2addr_b64 v161, v[55:56], v[30:31] offset1:1
	ds_store_2addr_b64 v161, v[20:21], v[32:33] offset0:2 offset1:3
	v_pack_b32_f16 v20, v1, v7
	v_add_f16_e32 v1, v11, v13
	v_pack_b32_f16 v21, v3, v5
	v_lshrrev_b32_e32 v3, 16, v15
	v_add_f16_e32 v5, v15, v19
	v_sub_f16_e32 v7, v13, v15
	v_add_f16_e32 v1, v1, v15
	v_sub_f16_e32 v12, v15, v13
	v_sub_f16_e32 v14, v15, v19
	v_lshrrev_b32_e32 v15, 16, v19
	v_add_f16_e32 v30, v13, v17
	v_add_f16_e32 v1, v1, v19
	v_lshrrev_b32_e32 v19, 16, v13
	v_sub_f16_e32 v31, v13, v17
	v_fma_f16 v5, -0.5, v5, v11
	v_lshrrev_b32_e32 v32, 16, v11
	v_add_f16_e32 v1, v1, v17
	v_lshrrev_b32_e32 v17, 16, v17
	v_fmac_f16_e32 v11, -0.5, v30
	v_sub_f16_e32 v30, v3, v15
	v_add_f16_e32 v12, v12, v18
	v_add_f16_e32 v35, v32, v19
	v_sub_f16_e32 v33, v19, v17
	v_sub_f16_e32 v13, v15, v17
	v_fmamk_f16 v18, v30, 0xbb9c, v11
	v_fmac_f16_e32 v11, 0x3b9c, v30
	v_add_f16_e32 v40, v38, v39
	v_add_f16_e32 v43, v41, v42
	;; [unrolled: 1-line block ×3, first 2 shown]
	v_fmac_f16_e32 v18, 0x38b4, v33
	v_fmac_f16_e32 v11, 0xb8b4, v33
	v_add_f16_e32 v16, v35, v3
	v_sub_f16_e32 v45, v38, v39
	v_sub_f16_e32 v47, v41, v42
	v_fmac_f16_e32 v18, 0x34f2, v12
	v_fmac_f16_e32 v11, 0x34f2, v12
	v_add_f16_e32 v12, v3, v15
	v_add_f16_e32 v16, v16, v15
	v_sub_f16_e32 v15, v17, v15
	v_sub_f16_e32 v48, v39, v42
	;; [unrolled: 1-line block ×3, first 2 shown]
	v_fma_f16 v34, -0.5, v12, v32
	v_add_f16_e32 v12, v19, v17
	ds_store_b64 v161, v[20:21] offset:32
	v_fmac_f16_e32 v32, -0.5, v12
	v_sub_f16_e32 v12, v3, v19
	v_sub_f16_e32 v3, v19, v3
	;; [unrolled: 1-line block ×3, first 2 shown]
	s_delay_alu instid0(VALU_DEP_4)
	v_fmamk_f16 v37, v14, 0x3b9c, v32
	v_fmac_f16_e32 v32, 0xbb9c, v14
	v_add_f16_e32 v12, v12, v13
	v_sub_f16_e32 v13, v26, v28
	v_add_f16_e32 v3, v3, v15
	v_fmac_f16_e32 v37, 0xb8b4, v31
	v_fmac_f16_e32 v32, 0x38b4, v31
	v_add_f16_e32 v15, v16, v17
	v_sub_f16_e32 v16, v22, v24
	v_sub_f16_e32 v17, v28, v26
	v_fmac_f16_e32 v37, 0x34f2, v12
	v_fmac_f16_e32 v32, 0x34f2, v12
	v_sub_f16_e32 v12, v24, v22
	s_delay_alu instid0(VALU_DEP_4) | instskip(SKIP_1) | instid1(VALU_DEP_3)
	v_add_f16_e32 v35, v16, v17
	v_sub_f16_e32 v17, v41, v38
	v_add_f16_e32 v12, v12, v13
	v_lshrrev_b32_e32 v13, 16, v9
	s_delay_alu instid0(VALU_DEP_1) | instskip(SKIP_3) | instid1(VALU_DEP_3)
	v_fma_f16 v40, -0.5, v40, v13
	v_add_f16_e32 v44, v13, v41
	v_fmac_f16_e32 v13, -0.5, v43
	v_add_f16_e32 v43, v22, v28
	v_add_f16_e32 v16, v44, v38
	v_fmamk_f16 v44, v33, 0x3b9c, v5
	s_delay_alu instid0(VALU_DEP_3) | instskip(SKIP_1) | instid1(VALU_DEP_4)
	v_fma_f16 v43, -0.5, v43, v9
	v_fmac_f16_e32 v5, 0xbb9c, v33
	v_add_f16_e32 v16, v16, v39
	s_delay_alu instid0(VALU_DEP_4) | instskip(NEXT) | instid1(VALU_DEP_4)
	v_fmac_f16_e32 v44, 0x38b4, v30
	v_fmamk_f16 v46, v45, 0xbb9c, v43
	v_fmac_f16_e32 v43, 0x3b9c, v45
	v_fmac_f16_e32 v5, 0xb8b4, v30
	v_add_f16_e32 v39, v16, v42
	v_add_f16_e32 v16, v24, v26
	v_fmac_f16_e32 v46, 0x38b4, v47
	v_fmac_f16_e32 v43, 0xb8b4, v47
	;; [unrolled: 1-line block ×4, first 2 shown]
	v_add_f16_e32 v30, v23, v29
	v_fmac_f16_e32 v46, 0x34f2, v12
	v_fmac_f16_e32 v43, 0x34f2, v12
	v_sub_f16_e32 v12, v38, v41
	v_fma_f16 v41, -0.5, v16, v9
	v_add_f16_e32 v38, v17, v19
	v_fmamk_f16 v17, v50, 0xbb9c, v40
	v_fmac_f16_e32 v40, 0x3b9c, v50
	v_add_f16_e32 v12, v12, v48
	v_sub_f16_e32 v48, v24, v26
	v_fmamk_f16 v16, v47, 0x3b9c, v41
	v_fmac_f16_e32 v41, 0xbb9c, v47
	v_add_f16_e32 v9, v9, v22
	v_fmamk_f16 v22, v31, 0xbb9c, v34
	v_fmamk_f16 v49, v48, 0x3b9c, v13
	v_fmac_f16_e32 v13, 0xbb9c, v48
	v_fmac_f16_e32 v16, 0x38b4, v45
	;; [unrolled: 1-line block ×11, first 2 shown]
	v_mul_f16_e32 v51, 0xb4f2, v43
	v_fmac_f16_e32 v17, 0x34f2, v38
	v_mul_f16_e32 v19, 0x3a79, v16
	v_mul_f16_e32 v42, 0xb8b4, v16
	v_mul_f16_e32 v52, 0xb4f2, v13
	v_add_f16_e32 v9, v9, v24
	v_fmac_f16_e32 v22, 0xb8b4, v14
	v_fmac_f16_e32 v34, 0x38b4, v14
	v_fmac_f16_e32 v41, 0x34f2, v35
	v_fmac_f16_e32 v52, 0xbb9c, v43
	v_mul_f16_e32 v43, 0x3b9c, v49
	v_fmac_f16_e32 v40, 0x34f2, v38
	v_fmac_f16_e32 v51, 0x3b9c, v13
	;; [unrolled: 1-line block ×5, first 2 shown]
	v_mul_f16_e32 v46, 0xbb9c, v46
	v_add_f16_e32 v9, v9, v26
	v_fmac_f16_e32 v22, 0x34f2, v3
	v_fmac_f16_e32 v34, 0x34f2, v3
	v_mul_f16_e32 v3, 0xba79, v41
	v_mul_f16_e32 v7, 0xba79, v40
	v_fmac_f16_e32 v46, 0x34f2, v49
	v_add_f16_e32 v12, v11, v51
	v_add_f16_e32 v13, v32, v52
	v_add_f16_e32 v9, v9, v28
	v_add_f16_e32 v16, v44, v19
	v_add_f16_e32 v17, v22, v42
	v_fmac_f16_e32 v3, 0x38b4, v40
	v_fmac_f16_e32 v7, 0xb8b4, v41
	v_pack_b32_f16 v13, v12, v13
	v_add_f16_e32 v12, v18, v43
	v_pack_b32_f16 v17, v16, v17
	v_add_f16_e32 v16, v1, v9
	v_add_f16_e32 v24, v15, v39
	v_sub_f16_e32 v19, v44, v19
	v_sub_f16_e32 v20, v18, v43
	;; [unrolled: 1-line block ×6, first 2 shown]
	v_add_f16_e32 v14, v5, v3
	v_add_f16_e32 v15, v34, v7
	v_pack_b32_f16 v18, v19, v18
	v_pack_b32_f16 v19, v20, v21
	;; [unrolled: 1-line block ×3, first 2 shown]
	v_sub_f16_e32 v3, v5, v3
	v_pack_b32_f16 v20, v14, v15
	v_add_co_u32 v15, null, 0x78, v155
	v_sub_f16_e32 v5, v34, v7
	v_sub_f16_e32 v7, v32, v52
	v_add_f16_e32 v49, v37, v46
	s_delay_alu instid0(VALU_DEP_4)
	v_mul_u32_u24_e32 v1, 10, v15
	v_pack_b32_f16 v16, v16, v24
	v_sub_f16_e32 v9, v6, v8
	v_add_f16_e32 v14, v6, v4
	v_pack_b32_f16 v12, v12, v49
	v_lshlrev_b32_e32 v170, 2, v1
	v_sub_f16_e32 v1, v11, v51
	ds_store_2addr_b64 v170, v[16:17], v[12:13] offset1:1
	ds_store_2addr_b64 v170, v[20:21], v[18:19] offset0:2 offset1:3
	v_pack_b32_f16 v11, v1, v7
	v_add_f16_e32 v1, v0, v8
	v_pack_b32_f16 v12, v3, v5
	v_sub_f16_e32 v5, v8, v6
	v_add_f16_e32 v7, v8, v2
	v_lshrrev_b32_e32 v13, 16, v6
	v_add_f16_e32 v1, v1, v6
	v_sub_f16_e32 v16, v6, v4
	v_lshrrev_b32_e32 v6, 16, v4
	v_lshrrev_b32_e32 v3, 16, v8
	v_sub_f16_e32 v17, v2, v4
	v_add_f16_e32 v1, v1, v4
	v_sub_f16_e32 v4, v4, v2
	v_lshrrev_b32_e32 v19, 16, v2
	v_fma_f16 v14, -0.5, v14, v0
	v_lshrrev_b32_e32 v32, 16, v0
	v_add_f16_e32 v18, v1, v2
	v_add_f16_e32 v1, v10, v23
	v_fmac_f16_e32 v0, -0.5, v7
	v_sub_f16_e32 v7, v13, v6
	v_sub_f16_e32 v33, v3, v19
	;; [unrolled: 1-line block ×3, first 2 shown]
	v_add_f16_e32 v1, v1, v25
	v_sub_f16_e32 v8, v8, v2
	v_lshrrev_b32_e32 v20, 16, v25
	v_add_f16_e32 v2, v25, v27
	v_sub_f16_e32 v21, v23, v25
	v_add_f16_e32 v1, v1, v27
	v_sub_f16_e32 v22, v25, v23
	v_sub_f16_e32 v24, v25, v27
	v_lshrrev_b32_e32 v25, 16, v27
	v_sub_f16_e32 v26, v29, v27
	v_add_f16_e32 v31, v1, v29
	v_add_f16_e32 v1, v9, v4
	v_fmamk_f16 v9, v7, 0xbb9c, v0
	v_fmac_f16_e32 v0, 0x3b9c, v7
	v_add_f16_e32 v4, v32, v3
	v_sub_f16_e32 v27, v27, v29
	v_lshrrev_b32_e32 v28, 16, v23
	v_fmac_f16_e32 v9, 0x38b4, v33
	v_fmac_f16_e32 v0, 0xb8b4, v33
	v_sub_f16_e32 v23, v23, v29
	v_lshrrev_b32_e32 v29, 16, v29
	v_fma_f16 v37, -0.5, v2, v10
	v_fmac_f16_e32 v9, 0x34f2, v1
	v_fmac_f16_e32 v0, 0x34f2, v1
	v_add_f16_e32 v1, v13, v6
	v_add_f16_e32 v2, v22, v27
	;; [unrolled: 1-line block ×4, first 2 shown]
	v_sub_f16_e32 v38, v25, v29
	v_fma_f16 v34, -0.5, v1, v32
	v_add_f16_e32 v1, v3, v19
	v_add_f16_e32 v4, v4, v13
	;; [unrolled: 1-line block ×3, first 2 shown]
	v_sub_f16_e32 v5, v19, v6
	v_sub_f16_e32 v40, v28, v29
	v_fmac_f16_e32 v32, -0.5, v1
	v_sub_f16_e32 v1, v13, v3
	v_sub_f16_e32 v3, v3, v13
	v_add_f16_e32 v4, v4, v6
	v_add_f16_e32 v21, v21, v26
	v_fmamk_f16 v26, v33, 0x3b9c, v14
	v_add_f16_e32 v1, v1, v35
	v_fmamk_f16 v35, v16, 0x3b9c, v32
	v_fmac_f16_e32 v32, 0xbb9c, v16
	v_add_f16_e32 v13, v4, v19
	v_add_f16_e32 v19, v3, v5
	v_sub_f16_e32 v4, v28, v20
	v_fmac_f16_e32 v35, 0xb8b4, v8
	v_fmac_f16_e32 v32, 0x38b4, v8
	v_sub_f16_e32 v5, v29, v25
	v_fmac_f16_e32 v26, 0x38b4, v7
	ds_store_b64 v170, v[11:12] offset:32
	v_fmac_f16_e32 v35, 0x34f2, v1
	v_fmac_f16_e32 v32, 0x34f2, v1
	v_lshrrev_b32_e32 v1, 16, v10
	v_fmac_f16_e32 v10, -0.5, v30
	v_fmac_f16_e32 v26, 0x34f2, v17
	v_fmac_f16_e32 v14, 0xbb9c, v33
	s_delay_alu instid0(VALU_DEP_4)
	v_fma_f16 v22, -0.5, v22, v1
	v_add_f16_e32 v30, v1, v28
	v_fmac_f16_e32 v1, -0.5, v27
	v_sub_f16_e32 v27, v20, v28
	v_fmamk_f16 v28, v8, 0xbb9c, v34
	v_fmac_f16_e32 v34, 0x3b9c, v8
	v_add_f16_e32 v3, v30, v20
	v_fmac_f16_e32 v14, 0xb8b4, v7
	v_add_f16_e32 v27, v27, v38
	v_fmamk_f16 v38, v24, 0x3b9c, v1
	v_fmac_f16_e32 v1, 0xbb9c, v24
	v_add_f16_e32 v3, v3, v25
	v_fmac_f16_e32 v28, 0xb8b4, v16
	v_fmac_f16_e32 v34, 0x38b4, v16
	;; [unrolled: 1-line block ×4, first 2 shown]
	v_sub_f16_e32 v8, v18, v31
	v_fmac_f16_e32 v28, 0x34f2, v19
	v_fmac_f16_e32 v14, 0x34f2, v17
	;; [unrolled: 1-line block ×4, first 2 shown]
	v_sub_f16_e32 v27, v20, v25
	v_add_f16_e32 v25, v3, v29
	v_fmamk_f16 v3, v40, 0x3b9c, v37
	v_add_f16_e32 v20, v4, v5
	v_mul_f16_e32 v41, 0xb4f2, v1
	v_fmamk_f16 v39, v27, 0xbb9c, v10
	v_fmac_f16_e32 v10, 0x3b9c, v27
	v_fmac_f16_e32 v3, 0x38b4, v27
	v_fmamk_f16 v4, v23, 0xbb9c, v22
	v_mul_f16_e32 v42, 0x3b9c, v38
	v_fmac_f16_e32 v39, 0x38b4, v40
	v_fmac_f16_e32 v10, 0xb8b4, v40
	;; [unrolled: 1-line block ×7, first 2 shown]
	v_mul_f16_e32 v5, 0x3a79, v3
	v_fmac_f16_e32 v4, 0x34f2, v20
	v_mul_f16_e32 v6, 0xb8b4, v3
	v_fmac_f16_e32 v42, 0x34f2, v39
	v_fmac_f16_e32 v41, 0xbb9c, v10
	v_mul_f16_e32 v10, 0xb4f2, v10
	v_mul_f16_e32 v39, 0xbb9c, v39
	v_fmac_f16_e32 v37, 0xbb9c, v40
	v_fmac_f16_e32 v5, 0x38b4, v4
	v_add_f16_e32 v2, v32, v41
	v_fmac_f16_e32 v10, 0x3b9c, v1
	v_fmac_f16_e32 v39, 0x34f2, v38
	;; [unrolled: 1-line block ×5, first 2 shown]
	v_add_f16_e32 v1, v0, v10
	v_add_f16_e32 v3, v26, v5
	;; [unrolled: 1-line block ×3, first 2 shown]
	v_sub_f16_e32 v5, v26, v5
	v_sub_f16_e32 v6, v28, v6
	v_pack_b32_f16 v2, v1, v2
	v_add_f16_e32 v1, v9, v42
	v_sub_f16_e32 v9, v9, v42
	v_sub_f16_e32 v11, v35, v39
	v_fmac_f16_e32 v22, 0x34f2, v20
	v_fmac_f16_e32 v37, 0x34f2, v21
	v_pack_b32_f16 v5, v5, v6
	v_sub_f16_e32 v12, v13, v25
	v_pack_b32_f16 v6, v9, v11
	v_mul_f16_e32 v11, 0xba79, v22
	v_mul_f16_e32 v9, 0xba79, v37
	v_fmac_f16_e32 v34, 0x34f2, v19
	v_add_f16_e32 v38, v35, v39
	v_pack_b32_f16 v4, v3, v4
	v_fmac_f16_e32 v11, 0xb8b4, v37
	v_add_co_u32 v37, null, 0xf0, v155
	v_fmac_f16_e32 v9, 0x38b4, v22
	v_add_f16_e32 v3, v18, v31
	v_add_f16_e32 v29, v13, v25
	v_pack_b32_f16 v8, v8, v12
	v_mul_u32_u24_e32 v12, 10, v37
	v_add_f16_e32 v7, v14, v9
	v_add_f16_e32 v13, v34, v11
	v_pack_b32_f16 v1, v1, v38
	v_pack_b32_f16 v3, v3, v29
	v_lshlrev_b32_e32 v169, 2, v12
	v_sub_f16_e32 v0, v0, v10
	v_pack_b32_f16 v7, v7, v13
	ds_store_2addr_b64 v169, v[3:4], v[1:2] offset1:1
	ds_store_2addr_b64 v169, v[7:8], v[5:6] offset0:2 offset1:3
	v_sub_f16_e32 v1, v14, v9
	v_sub_f16_e32 v2, v34, v11
	v_sub_f16_e32 v3, v32, v41
	s_delay_alu instid0(VALU_DEP_2) | instskip(NEXT) | instid1(VALU_DEP_2)
	v_pack_b32_f16 v1, v1, v2
	v_pack_b32_f16 v0, v0, v3
	ds_store_b64 v169, v[0:1] offset:32
	v_and_b32_e32 v0, 0xffff, v37
	global_wb scope:SCOPE_SE
	s_wait_dscnt 0x0
	s_barrier_signal -1
	s_barrier_wait -1
	global_inv scope:SCOPE_SE
	v_mul_u32_u24_e32 v0, 0xcccd, v0
	s_delay_alu instid0(VALU_DEP_1) | instskip(NEXT) | instid1(VALU_DEP_1)
	v_lshrrev_b32_e32 v20, 19, v0
	v_mul_lo_u16 v0, v20, 10
	s_delay_alu instid0(VALU_DEP_1) | instskip(NEXT) | instid1(VALU_DEP_1)
	v_sub_nc_u16 v21, v37, v0
	v_mul_lo_u16 v0, v21, 36
	s_delay_alu instid0(VALU_DEP_1) | instskip(NEXT) | instid1(VALU_DEP_1)
	v_and_b32_e32 v0, 0xffff, v0
	v_add_co_u32 v0, s2, s6, v0
	s_wait_alu 0xf1ff
	v_add_co_ci_u32_e64 v1, null, s7, 0, s2
	s_clause 0x2
	global_load_b32 v158, v[0:1], off offset:32
	global_load_b128 v[91:94], v[0:1], off
	global_load_b128 v[95:98], v[0:1], off offset:16
	ds_load_2addr_b32 v[9:10], v120 offset0:16 offset1:136
	ds_load_2addr_b32 v[11:12], v133 offset0:96 offset1:216
	;; [unrolled: 1-line block ×9, first 2 shown]
	s_wait_dscnt 0x8
	v_lshrrev_b32_e32 v0, 16, v9
	s_wait_dscnt 0x6
	v_lshrrev_b32_e32 v1, 16, v13
	;; [unrolled: 2-line block ×3, first 2 shown]
	v_lshrrev_b32_e32 v5, 16, v14
	s_wait_dscnt 0x3
	v_lshrrev_b32_e32 v156, 16, v81
	s_wait_dscnt 0x1
	;; [unrolled: 2-line block ×3, first 2 shown]
	v_lshrrev_b32_e32 v3, 16, v84
	s_wait_loadcnt 0x2
	v_lshrrev_b32_e32 v4, 16, v158
	s_wait_loadcnt 0x1
	;; [unrolled: 2-line block ×3, first 2 shown]
	v_lshrrev_b32_e32 v164, 16, v96
	v_lshrrev_b32_e32 v167, 16, v92
	v_lshrrev_b32_e32 v163, 16, v98
	v_lshrrev_b32_e32 v194, 16, v95
	v_mul_f16_e64 v22, v9, v166
	v_mul_f16_e64 v24, v11, v164
	;; [unrolled: 1-line block ×3, first 2 shown]
	v_lshrrev_b32_e32 v195, 16, v97
	v_mul_f16_e64 v58, v77, v194
	v_fmac_f16_e32 v22, v0, v94
	v_mul_f16_e64 v0, v0, v166
	v_fmac_f16_e32 v23, v1, v92
	v_mul_f16_e64 v1, v1, v167
	v_lshrrev_b32_e32 v202, 16, v91
	v_lshrrev_b32_e32 v203, 16, v93
	v_fma_f16 v26, v9, v94, -v0
	ds_load_2addr_b32 v[8:9], v141 offset0:48 offset1:168
	v_lshrrev_b32_e32 v0, 16, v11
	v_fma_f16 v13, v13, v92, -v1
	v_mul_f16_e64 v60, v82, v195
	v_mul_f16_e64 v53, v31, v202
	;; [unrolled: 1-line block ×3, first 2 shown]
	v_fmac_f16_e32 v24, v0, v96
	v_mul_f16_e64 v0, v0, v164
	v_add_f16_e32 v57, v28, v13
	v_mul_f16_e32 v62, v84, v4
	s_delay_alu instid0(VALU_DEP_4) | instskip(NEXT) | instid1(VALU_DEP_4)
	v_sub_f16_e32 v42, v22, v24
	v_fma_f16 v11, v11, v96, -v0
	s_delay_alu instid0(VALU_DEP_3) | instskip(SKIP_1) | instid1(VALU_DEP_3)
	v_fmac_f16_e64 v62, v3, v158
	v_mul_f16_e32 v3, v3, v4
	v_add_f16_e32 v0, v26, v11
	s_wait_dscnt 0x0
	v_lshrrev_b32_e32 v2, 16, v8
	v_mul_f16_e64 v25, v8, v163
	s_delay_alu instid0(VALU_DEP_3) | instskip(SKIP_2) | instid1(VALU_DEP_4)
	v_fma_f16 v27, -0.5, v0, v28
	v_fma_f16 v64, v84, v158, -v3
	v_lshrrev_b32_e32 v3, 16, v29
	v_fmac_f16_e32 v25, v2, v98
	v_mul_f16_e64 v2, v2, v163
	s_delay_alu instid0(VALU_DEP_2) | instskip(NEXT) | instid1(VALU_DEP_2)
	v_sub_f16_e32 v48, v23, v25
	v_fma_f16 v8, v8, v98, -v2
	v_lshrrev_b32_e32 v2, 16, v79
	s_delay_alu instid0(VALU_DEP_2) | instskip(SKIP_1) | instid1(VALU_DEP_3)
	v_add_f16_e32 v0, v13, v8
	v_sub_f16_e32 v1, v11, v8
	v_fmac_f16_e32 v59, v2, v93
	v_mul_f16_e64 v2, v2, v203
	s_delay_alu instid0(VALU_DEP_4) | instskip(SKIP_1) | instid1(VALU_DEP_4)
	v_fmac_f16_e32 v28, -0.5, v0
	v_sub_f16_e32 v0, v26, v13
	v_sub_f16_e32 v50, v59, v62
	s_delay_alu instid0(VALU_DEP_4) | instskip(NEXT) | instid1(VALU_DEP_4)
	v_fma_f16 v69, v79, v93, -v2
	v_fmamk_f16 v41, v42, 0xbb9c, v28
	s_delay_alu instid0(VALU_DEP_4)
	v_add_f16_e32 v55, v0, v1
	v_lshrrev_b32_e32 v1, 16, v77
	v_lshrrev_b32_e32 v0, 16, v31
	v_sub_f16_e32 v51, v69, v64
	v_fmac_f16_e32 v28, 0x3b9c, v42
	v_fmac_f16_e32 v41, 0x38b4, v48
	;; [unrolled: 1-line block ×3, first 2 shown]
	v_mul_f16_e64 v1, v1, v194
	v_fmac_f16_e32 v53, v0, v91
	v_mul_f16_e64 v0, v0, v202
	v_fmac_f16_e32 v28, 0xb8b4, v48
	v_fmac_f16_e32 v41, 0x34f2, v55
	v_fma_f16 v61, v77, v95, -v1
	v_lshrrev_b32_e32 v1, 16, v82
	v_fma_f16 v56, v31, v91, -v0
	v_add_f16_e32 v75, v53, v59
	v_fmac_f16_e32 v28, 0x34f2, v55
	v_lshrrev_b32_e32 v31, 16, v30
	v_fmac_f16_e32 v60, v1, v97
	v_mul_f16_e64 v1, v1, v195
	v_add_f16_e32 v74, v56, v69
	s_delay_alu instid0(VALU_DEP_3) | instskip(NEXT) | instid1(VALU_DEP_3)
	v_sub_f16_e32 v43, v58, v60
	v_fma_f16 v63, v82, v97, -v1
	s_delay_alu instid0(VALU_DEP_1) | instskip(SKIP_2) | instid1(VALU_DEP_3)
	v_add_f16_e32 v0, v61, v63
	v_sub_f16_e32 v1, v63, v64
	v_sub_f16_e32 v49, v61, v63
	v_fma_f16 v39, -0.5, v0, v56
	v_add_f16_e32 v0, v69, v64
	s_delay_alu instid0(VALU_DEP_1) | instskip(SKIP_1) | instid1(VALU_DEP_2)
	v_fmac_f16_e32 v56, -0.5, v0
	v_sub_f16_e32 v0, v61, v69
	v_fmamk_f16 v71, v43, 0xbb9c, v56
	s_delay_alu instid0(VALU_DEP_2) | instskip(SKIP_4) | instid1(VALU_DEP_4)
	v_add_f16_e32 v70, v0, v1
	v_add_f16_e32 v0, v58, v60
	v_sub_f16_e32 v1, v60, v62
	v_fmac_f16_e32 v56, 0x3b9c, v43
	v_fmac_f16_e32 v71, 0x38b4, v50
	v_fma_f16 v40, -0.5, v0, v53
	v_add_f16_e32 v0, v59, v62
	s_delay_alu instid0(VALU_DEP_4) | instskip(NEXT) | instid1(VALU_DEP_4)
	v_fmac_f16_e32 v56, 0xb8b4, v50
	v_fmac_f16_e32 v71, 0x34f2, v70
	s_delay_alu instid0(VALU_DEP_3) | instskip(SKIP_1) | instid1(VALU_DEP_4)
	v_fmac_f16_e32 v53, -0.5, v0
	v_sub_f16_e32 v0, v58, v59
	v_fmac_f16_e32 v56, 0x34f2, v70
	s_delay_alu instid0(VALU_DEP_3) | instskip(NEXT) | instid1(VALU_DEP_3)
	v_fmamk_f16 v73, v49, 0x3b9c, v53
	v_add_f16_e32 v72, v0, v1
	v_and_b32_e32 v0, 0xff, v36
	v_fmac_f16_e32 v53, 0xbb9c, v49
	v_mul_f16_e32 v2, 0xb4f2, v56
	v_fmac_f16_e32 v73, 0xb8b4, v51
	s_delay_alu instid0(VALU_DEP_4) | instskip(NEXT) | instid1(VALU_DEP_4)
	v_mul_lo_u16 v0, 0xcd, v0
	v_fmac_f16_e32 v53, 0x38b4, v51
	s_delay_alu instid0(VALU_DEP_3) | instskip(NEXT) | instid1(VALU_DEP_3)
	v_fmac_f16_e32 v73, 0x34f2, v72
	v_lshrrev_b16 v0, 11, v0
	s_delay_alu instid0(VALU_DEP_3) | instskip(NEXT) | instid1(VALU_DEP_2)
	v_fmac_f16_e32 v53, 0x34f2, v72
	v_mul_lo_u16 v1, v0, 10
	s_delay_alu instid0(VALU_DEP_2) | instskip(SKIP_1) | instid1(VALU_DEP_3)
	v_fmac_f16_e32 v2, 0x3b9c, v53
	v_and_b32_e32 v0, 0xffff, v0
	v_sub_nc_u16 v1, v36, v1
	s_delay_alu instid0(VALU_DEP_3) | instskip(SKIP_1) | instid1(VALU_DEP_4)
	v_add_f16_e32 v54, v28, v2
	v_sub_f16_e32 v52, v28, v2
	v_mul_u32_u24_e32 v0, 0x64, v0
	s_delay_alu instid0(VALU_DEP_4) | instskip(NEXT) | instid1(VALU_DEP_1)
	v_and_b32_e32 v1, 0xff, v1
	v_mad_co_u64_u32 v[44:45], null, v1, 36, s[6:7]
	s_clause 0x2
	global_load_b128 v[32:35], v[44:45], off
	global_load_b128 v[87:90], v[44:45], off offset:16
	global_load_b32 v216, v[44:45], off offset:32
	s_wait_loadcnt 0x2
	v_lshrrev_b32_e32 v241, 16, v34
	s_wait_loadcnt 0x1
	v_lshrrev_b32_e32 v221, 16, v87
	v_lshrrev_b32_e32 v220, 16, v89
	;; [unrolled: 1-line block ×3, first 2 shown]
	s_wait_loadcnt 0x0
	v_lshrrev_b32_e32 v218, 16, v216
	v_mul_f16_e64 v6, v5, v241
	v_mul_f16_e64 v7, v14, v241
	;; [unrolled: 1-line block ×5, first 2 shown]
	v_fma_f16 v6, v14, v34, -v6
	v_lshrrev_b32_e32 v14, 16, v10
	v_mul_f16_e64 v4, v3, v243
	v_fmac_f16_e32 v2, v3, v32
	v_fmac_f16_e32 v7, v5, v34
	v_mul_f16_e64 v79, v9, v218
	v_mul_f16_e64 v16, v14, v221
	v_fma_f16 v4, v29, v32, -v4
	v_fmac_f16_e32 v17, v14, v87
	v_lshrrev_b32_e32 v14, 16, v9
	v_lshrrev_b32_e32 v253, 16, v33
	v_fma_f16 v16, v10, v87, -v16
	v_lshrrev_b32_e32 v10, 16, v12
	v_lshrrev_b32_e32 v254, 16, v35
	v_fmac_f16_e64 v79, v14, v216
	v_lshrrev_b32_e32 v233, 16, v88
	v_lshrrev_b32_e32 v235, 16, v90
	v_mul_f16_e64 v18, v10, v220
	v_fmac_f16_e32 v19, v10, v89
	v_mul_f16_e64 v10, v14, v218
	v_lshrrev_b32_e32 v14, 16, v76
	v_sub_f16_e64 v209, v7, v79
	v_fma_f16 v18, v12, v89, -v18
	v_and_b32_e32 v12, 0xff, v15
	v_fma_f16 v77, v9, v216, -v10
	v_sub_f16_e64 v204, v79, v19
	v_sub_f16_e64 v211, v17, v19
	;; [unrolled: 1-line block ×3, first 2 shown]
	v_mul_lo_u16 v3, 0xcd, v12
	v_sub_f16_e64 v201, v77, v18
	v_sub_f16_e64 v207, v6, v77
	v_add_f16_e64 v213, v2, v7
	v_mul_lo_u16 v12, v12, 41
	v_lshrrev_b16 v3, 11, v3
	s_delay_alu instid0(VALU_DEP_3) | instskip(NEXT) | instid1(VALU_DEP_3)
	v_add_f16_e64 v213, v213, v17
	v_lshrrev_b16 v12, 12, v12
	s_delay_alu instid0(VALU_DEP_3) | instskip(SKIP_1) | instid1(VALU_DEP_4)
	v_mul_lo_u16 v5, v3, 10
	v_and_b32_e32 v3, 0xffff, v3
	v_add_f16_e64 v213, v213, v19
	s_delay_alu instid0(VALU_DEP_3) | instskip(NEXT) | instid1(VALU_DEP_3)
	v_sub_nc_u16 v5, v15, v5
	v_mul_u32_u24_e32 v3, 0x64, v3
	s_delay_alu instid0(VALU_DEP_3) | instskip(NEXT) | instid1(VALU_DEP_3)
	v_add_f16_e64 v213, v213, v79
	v_and_b32_e32 v5, 0xff, v5
	s_delay_alu instid0(VALU_DEP_1)
	v_mad_co_u64_u32 v[28:29], null, v5, 36, s[6:7]
	global_load_b128 v[44:47], v[28:29], off
	s_wait_loadcnt 0x0
	v_lshrrev_b32_e32 v238, 16, v44
	v_lshrrev_b32_e32 v244, 16, v45
	;; [unrolled: 1-line block ×4, first 2 shown]
	s_delay_alu instid0(VALU_DEP_4) | instskip(SKIP_1) | instid1(VALU_DEP_2)
	v_mul_f16_e64 v9, v31, v238
	v_mul_f16_e64 v82, v30, v238
	v_fma_f16 v80, v30, v44, -v9
	ds_load_2addr_b32 v[9:10], v152 offset0:80 offset1:200
	v_fmac_f16_e32 v82, v31, v44
	s_wait_dscnt 0x0
	v_lshrrev_b32_e32 v30, 16, v9
	v_mul_f16_e64 v84, v9, v253
	v_mul_f16_e64 v99, v10, v244
	s_delay_alu instid0(VALU_DEP_2) | instskip(SKIP_1) | instid1(VALU_DEP_1)
	v_fmac_f16_e32 v84, v30, v33
	v_mul_f16_e64 v30, v30, v253
	v_fma_f16 v85, v9, v33, -v30
	v_lshrrev_b32_e32 v30, 16, v10
	s_delay_alu instid0(VALU_DEP_1) | instskip(SKIP_1) | instid1(VALU_DEP_2)
	v_mul_f16_e64 v9, v30, v244
	v_fmac_f16_e32 v99, v30, v45
	v_fma_f16 v86, v10, v45, -v9
	v_mul_f16_e64 v9, v100, v239
	s_delay_alu instid0(VALU_DEP_1)
	v_fma_f16 v102, v78, v46, -v9
	ds_load_2addr_b32 v[9:10], v140 offset0:32 offset1:152
	s_clause 0x1
	global_load_b32 v165, v[28:29], off offset:32
	global_load_b128 v[28:31], v[28:29], off offset:16
	v_mul_f16_e64 v78, v78, v239
	v_add_f16_e64 v178, v80, v102
	s_delay_alu instid0(VALU_DEP_2) | instskip(NEXT) | instid1(VALU_DEP_1)
	v_fmac_f16_e32 v78, v100, v46
	v_add_f16_e64 v181, v82, v78
	s_wait_dscnt 0x0
	v_lshrrev_b32_e32 v103, 16, v9
	v_mul_f16_e64 v104, v9, v254
	v_mul_f16_e64 v106, v10, v247
	s_delay_alu instid0(VALU_DEP_2) | instskip(SKIP_1) | instid1(VALU_DEP_1)
	v_fmac_f16_e32 v104, v103, v35
	v_mul_f16_e64 v103, v103, v254
	v_fma_f16 v103, v9, v35, -v103
	v_lshrrev_b32_e32 v9, 16, v10
	s_delay_alu instid0(VALU_DEP_1) | instskip(SKIP_1) | instid1(VALU_DEP_2)
	v_mul_f16_e64 v105, v9, v247
	v_fmac_f16_e32 v106, v9, v47
	v_fma_f16 v105, v10, v47, -v105
	s_wait_loadcnt 0x0
	v_lshrrev_b32_e32 v226, 16, v28
	v_lshrrev_b32_e32 v231, 16, v29
	;; [unrolled: 1-line block ×4, first 2 shown]
	s_delay_alu instid0(VALU_DEP_4) | instskip(NEXT) | instid1(VALU_DEP_1)
	v_mul_f16_e64 v9, v14, v226
	v_fma_f16 v100, v76, v28, -v9
	ds_load_2addr_b32 v[9:10], v139 offset0:112 offset1:232
	v_mul_f16_e64 v76, v76, v226
	s_delay_alu instid0(VALU_DEP_1)
	v_fmac_f16_e32 v76, v14, v28
	s_wait_dscnt 0x0
	v_lshrrev_b32_e32 v108, 16, v9
	v_mul_f16_e64 v121, v9, v233
	v_lshrrev_b32_e32 v126, 16, v10
	v_mul_f16_e64 v146, v10, v231
	s_delay_alu instid0(VALU_DEP_3) | instskip(SKIP_1) | instid1(VALU_DEP_3)
	v_fmac_f16_e32 v121, v108, v88
	v_mul_f16_e64 v108, v108, v233
	v_fmac_f16_e64 v146, v126, v29
	s_delay_alu instid0(VALU_DEP_3) | instskip(NEXT) | instid1(VALU_DEP_3)
	v_add_f16_e64 v222, v104, v121
	v_fma_f16 v108, v9, v88, -v108
	v_mul_f16_e64 v9, v126, v231
	s_delay_alu instid0(VALU_DEP_4) | instskip(SKIP_1) | instid1(VALU_DEP_4)
	v_sub_f16_e64 v184, v106, v146
	v_sub_f16_e64 v219, v104, v121
	;; [unrolled: 1-line block ×3, first 2 shown]
	s_delay_alu instid0(VALU_DEP_4) | instskip(SKIP_1) | instid1(VALU_DEP_2)
	v_fma_f16 v135, v10, v29, -v9
	v_mul_f16_e64 v9, v156, v228
	v_add_f16_e64 v14, v105, v135
	s_delay_alu instid0(VALU_DEP_2) | instskip(SKIP_3) | instid1(VALU_DEP_2)
	v_fma_f16 v160, v81, v30, -v9
	ds_load_2addr_b32 v[9:10], v145 offset0:64 offset1:184
	v_mul_f16_e64 v81, v81, v228
	v_sub_f16_e64 v190, v100, v160
	v_fmac_f16_e64 v81, v156, v30
	s_delay_alu instid0(VALU_DEP_1) | instskip(SKIP_4) | instid1(VALU_DEP_2)
	v_sub_f16_e64 v186, v76, v81
	s_wait_dscnt 0x0
	v_lshrrev_b32_e32 v162, 16, v9
	v_mul_f16_e64 v171, v9, v235
	v_mul_f16_e64 v174, v10, v234
	v_fmac_f16_e64 v171, v162, v90
	v_mul_f16_e64 v162, v162, v235
	s_delay_alu instid0(VALU_DEP_2) | instskip(NEXT) | instid1(VALU_DEP_2)
	v_sub_f16_e64 v200, v171, v121
	v_fma_f16 v162, v9, v90, -v162
	v_lshrrev_b32_e32 v9, 16, v10
	s_delay_alu instid0(VALU_DEP_2) | instskip(NEXT) | instid1(VALU_DEP_2)
	v_sub_f16_e64 v199, v162, v108
	v_mul_f16_e64 v168, v9, v234
	v_fmac_f16_e64 v174, v9, v31
	v_add_f16_e64 v196, v85, v162
	v_sub_f16_e64 v223, v85, v162
	s_delay_alu instid0(VALU_DEP_4) | instskip(SKIP_3) | instid1(VALU_DEP_4)
	v_fma_f16 v172, v10, v31, -v168
	v_lshrrev_b32_e32 v10, 16, v83
	v_lshrrev_b32_e32 v168, 16, v165
	v_sub_f16_e64 v189, v99, v174
	v_add_f16_e64 v126, v86, v172
	s_delay_alu instid0(VALU_DEP_3) | instskip(NEXT) | instid1(VALU_DEP_1)
	v_mul_f16_e64 v173, v10, v168
	v_fma_f16 v175, v83, v165, -v173
	v_mul_f16_e64 v83, v83, v168
	v_sub_f16_e64 v173, v135, v172
	s_delay_alu instid0(VALU_DEP_3) | instskip(NEXT) | instid1(VALU_DEP_3)
	v_sub_f16_e64 v179, v160, v175
	v_fmac_f16_e64 v83, v10, v165
	ds_load_2addr_b32 v[9:10], v134 offset1:120
	v_sub_f16_e64 v192, v102, v175
	global_wb scope:SCOPE_SE
	s_wait_dscnt 0x0
	s_barrier_signal -1
	v_sub_f16_e64 v188, v78, v83
	v_sub_f16_e64 v183, v81, v83
	s_barrier_wait -1
	global_inv scope:SCOPE_SE
	v_fma_f16 v14, -0.5, v14, v10
	v_lshrrev_b32_e32 v156, 16, v10
	v_add_f16_e64 v176, v10, v86
	v_fmac_f16_e32 v10, -0.5, v126
	v_sub_f16_e32 v126, v105, v86
	v_fma_f16 v196, -0.5, v196, v9
	v_lshrrev_b32_e32 v198, 16, v9
	s_delay_alu instid0(VALU_DEP_4) | instskip(NEXT) | instid1(VALU_DEP_4)
	v_fma_f16 v185, 0xbb9c, v184, v10
	v_add_f16_e64 v126, v126, v173
	v_add_f16_e64 v173, v100, v160
	v_fmac_f16_e64 v10, 0x3b9c, v184
	v_fma_f16 v222, -0.5, v222, v198
	v_fmac_f16_e64 v185, 0x38b4, v189
	s_delay_alu instid0(VALU_DEP_4)
	v_fma_f16 v177, -0.5, v173, v80
	v_add_f16_e64 v173, v102, v175
	v_fmac_f16_e64 v10, 0xb8b4, v189
	v_fma_f16 v224, 0xbb9c, v223, v222
	v_fmac_f16_e64 v222, 0x3b9c, v223
	v_fmac_f16_e64 v185, 0x34f2, v126
	v_fmac_f16_e64 v80, -0.5, v173
	v_sub_f16_e64 v173, v100, v102
	v_fmac_f16_e32 v10, 0x34f2, v126
	v_fmac_f16_e64 v222, 0x38b4, v225
	v_fmac_f16_e64 v224, 0xb8b4, v225
	v_fma_f16 v187, 0xbb9c, v186, v80
	v_add_f16_e64 v179, v173, v179
	v_add_f16_e64 v173, v76, v81
	v_fmac_f16_e64 v80, 0x3b9c, v186
	s_delay_alu instid0(VALU_DEP_4) | instskip(NEXT) | instid1(VALU_DEP_3)
	v_fmac_f16_e64 v187, 0x38b4, v188
	v_fma_f16 v180, -0.5, v173, v82
	v_add_f16_e64 v173, v78, v83
	s_delay_alu instid0(VALU_DEP_4) | instskip(NEXT) | instid1(VALU_DEP_4)
	v_fmac_f16_e64 v80, 0xb8b4, v188
	v_fmac_f16_e64 v187, 0x34f2, v179
	s_delay_alu instid0(VALU_DEP_3) | instskip(SKIP_1) | instid1(VALU_DEP_4)
	v_fmac_f16_e64 v82, -0.5, v173
	v_sub_f16_e64 v173, v76, v78
	v_fmac_f16_e64 v80, 0x34f2, v179
	s_delay_alu instid0(VALU_DEP_3) | instskip(SKIP_1) | instid1(VALU_DEP_4)
	v_fma_f16 v191, 0x3b9c, v190, v82
	v_fmac_f16_e64 v82, 0xbb9c, v190
	v_add_f16_e64 v183, v173, v183
	v_add_f16_e64 v173, v103, v108
	s_delay_alu instid0(VALU_DEP_4) | instskip(NEXT) | instid1(VALU_DEP_4)
	v_fmac_f16_e64 v191, 0xb8b4, v192
	v_fmac_f16_e64 v82, 0x38b4, v192
	s_delay_alu instid0(VALU_DEP_3) | instskip(SKIP_2) | instid1(VALU_DEP_4)
	v_fma_f16 v193, -0.5, v173, v9
	v_mul_f16_e64 v173, 0xb4f2, v80
	v_add_f16_e32 v9, v9, v85
	v_fmac_f16_e64 v82, 0x34f2, v183
	v_fmac_f16_e64 v191, 0x34f2, v183
	s_delay_alu instid0(VALU_DEP_2) | instskip(SKIP_1) | instid1(VALU_DEP_2)
	v_fmac_f16_e64 v173, 0x3b9c, v82
	v_mul_f16_e32 v82, 0xb4f2, v82
	v_add_f16_e64 v197, v10, v173
	v_sub_f16_e64 v10, v10, v173
	v_sub_f16_e64 v173, v85, v103
	v_sub_f16_e32 v85, v103, v85
	v_fmac_f16_e32 v82, 0xbb9c, v80
	s_delay_alu instid0(VALU_DEP_3) | instskip(SKIP_1) | instid1(VALU_DEP_1)
	v_add_f16_e64 v199, v173, v199
	v_sub_f16_e64 v173, v84, v104
	v_add_f16_e64 v200, v173, v200
	v_sub_f16_e64 v173, v6, v16
	s_delay_alu instid0(VALU_DEP_2) | instskip(NEXT) | instid1(VALU_DEP_2)
	v_fmac_f16_e64 v222, 0x34f2, v200
	v_add_f16_e64 v201, v173, v201
	v_sub_f16_e64 v173, v7, v17
	v_fmac_f16_e64 v224, 0x34f2, v200
	s_delay_alu instid0(VALU_DEP_2) | instskip(SKIP_1) | instid1(VALU_DEP_1)
	v_add_f16_e64 v204, v173, v204
	v_add_f16_e64 v173, v16, v18
	v_fma_f16 v205, -0.5, v173, v4
	v_add_f16_e64 v173, v17, v19
	s_delay_alu instid0(VALU_DEP_2) | instskip(NEXT) | instid1(VALU_DEP_2)
	v_fma_f16 v210, 0x3b9c, v209, v205
	v_fma_f16 v206, -0.5, v173, v2
	v_fmac_f16_e64 v205, 0xbb9c, v209
	s_delay_alu instid0(VALU_DEP_3) | instskip(NEXT) | instid1(VALU_DEP_3)
	v_fmac_f16_e64 v210, 0x38b4, v211
	v_fma_f16 v173, 0xbb9c, v207, v206
	v_fmac_f16_e64 v206, 0x3b9c, v207
	s_delay_alu instid0(VALU_DEP_4) | instskip(NEXT) | instid1(VALU_DEP_4)
	v_fmac_f16_e64 v205, 0xb8b4, v211
	v_fmac_f16_e64 v210, 0x34f2, v201
	s_delay_alu instid0(VALU_DEP_4) | instskip(NEXT) | instid1(VALU_DEP_4)
	v_fmac_f16_e64 v173, 0xb8b4, v208
	v_fmac_f16_e64 v206, 0x38b4, v208
	s_delay_alu instid0(VALU_DEP_4) | instskip(NEXT) | instid1(VALU_DEP_3)
	v_fmac_f16_e64 v205, 0x34f2, v201
	v_fmac_f16_e64 v173, 0x34f2, v204
	s_delay_alu instid0(VALU_DEP_3) | instskip(NEXT) | instid1(VALU_DEP_2)
	v_fmac_f16_e64 v206, 0x34f2, v204
	v_mul_f16_e64 v212, 0x38b4, v173
	s_delay_alu instid0(VALU_DEP_1) | instskip(SKIP_1) | instid1(VALU_DEP_1)
	v_fmac_f16_e64 v212, 0x3a79, v210
	v_mul_f16_e64 v210, 0xb8b4, v210
	v_fmac_f16_e64 v210, 0x3a79, v173
	v_add_lshl_u32 v173, v0, v1, 2
	v_add_f16_e32 v0, v9, v103
	v_add_f16_e64 v1, v198, v84
	v_add_f16_e32 v9, v4, v6
	v_sub_f16_e64 v103, v108, v162
	v_add_f16_e64 v229, v224, v210
	v_add_f16_e32 v0, v0, v108
	v_add_f16_e32 v1, v1, v104
	;; [unrolled: 1-line block ×3, first 2 shown]
	v_sub_f16_e32 v16, v16, v6
	v_add_f16_e32 v6, v6, v77
	v_add_f16_e64 v0, v0, v162
	v_add_f16_e32 v1, v1, v121
	v_add_f16_e32 v9, v9, v18
	v_sub_f16_e32 v18, v18, v77
	v_fmac_f16_e32 v4, -0.5, v6
	v_add_f16_e32 v85, v85, v103
	v_add_f16_e64 v1, v1, v171
	v_add_f16_e32 v9, v9, v77
	v_add_f16_e32 v6, v16, v18
	;; [unrolled: 1-line block ×3, first 2 shown]
	v_sub_f16_e32 v7, v17, v7
	v_fma_f16 v17, 0xbb9c, v211, v4
	v_fmac_f16_e64 v4, 0x3b9c, v211
	v_add_f16_e64 v214, v0, v9
	v_add_f16_e64 v215, v1, v213
	v_fmac_f16_e32 v2, -0.5, v16
	v_sub_f16_e32 v16, v19, v79
	v_fmac_f16_e64 v17, 0x38b4, v209
	v_fmac_f16_e64 v4, 0xb8b4, v209
	v_pack_b32_f16 v214, v214, v215
	v_sub_f16_e64 v215, v84, v171
	v_sub_f16_e32 v103, v104, v84
	v_add_f16_e64 v84, v84, v171
	v_fmac_f16_e32 v17, 0x34f2, v6
	v_fmac_f16_e32 v4, 0x34f2, v6
	v_add_f16_e32 v6, v7, v16
	v_fma_f16 v7, 0x3b9c, v208, v2
	v_fmac_f16_e64 v198, -0.5, v84
	v_fmac_f16_e64 v2, 0xbb9c, v208
	v_sub_f16_e64 v104, v121, v171
	v_fma_f16 v108, 0xbb9c, v219, v196
	v_fmac_f16_e64 v7, 0xb8b4, v207
	v_fma_f16 v77, 0x3b9c, v225, v198
	v_fmac_f16_e64 v2, 0x38b4, v207
	v_mul_f16_e32 v16, 0xbb9c, v17
	v_fmac_f16_e64 v196, 0x3b9c, v219
	v_fmac_f16_e32 v7, 0x34f2, v6
	v_fmac_f16_e64 v108, 0x38b4, v215
	v_add_f16_e32 v84, v103, v104
	v_fmac_f16_e64 v198, 0xbb9c, v225
	v_fmac_f16_e64 v77, 0xb8b4, v223
	v_fmac_f16_e32 v2, 0x34f2, v6
	v_mul_f16_e32 v6, 0x3b9c, v7
	v_fmac_f16_e32 v16, 0x34f2, v7
	v_mul_f16_e32 v7, 0xb4f2, v4
	v_fmac_f16_e64 v196, 0xb8b4, v215
	v_fmac_f16_e32 v108, 0x34f2, v85
	v_fmac_f16_e64 v198, 0x38b4, v223
	v_fmac_f16_e32 v77, 0x34f2, v84
	v_fmac_f16_e32 v6, 0x34f2, v17
	;; [unrolled: 1-line block ×3, first 2 shown]
	v_mul_f16_e32 v2, 0xb4f2, v2
	v_fmac_f16_e64 v196, 0x34f2, v85
	v_fmac_f16_e64 v198, 0x34f2, v84
	v_add_f16_e32 v17, v77, v16
	v_fma_f16 v217, 0x3b9c, v215, v193
	v_fmac_f16_e32 v2, 0xbb9c, v4
	v_add_f16_e32 v4, v108, v6
	v_fmac_f16_e64 v193, 0xbb9c, v215
	v_sub_f16_e32 v0, v0, v9
	v_fmac_f16_e64 v217, 0x38b4, v219
	v_add_f16_e64 v18, v198, v2
	v_pack_b32_f16 v4, v4, v17
	v_add_f16_e64 v17, v196, v7
	v_fmac_f16_e64 v193, 0xb8b4, v219
	v_sub_f16_e64 v1, v1, v213
	v_fmac_f16_e64 v217, 0x34f2, v199
	v_sub_f16_e64 v2, v198, v2
	v_pack_b32_f16 v17, v17, v18
	v_fmac_f16_e64 v193, 0x34f2, v199
	v_pack_b32_f16 v0, v0, v1
	v_sub_f16_e32 v1, v108, v6
	v_sub_f16_e64 v6, v224, v210
	ds_store_2addr_b32 v173, v4, v17 offset0:20 offset1:30
	v_mul_f16_e64 v4, 0xba79, v205
	v_mul_f16_e64 v17, 0xba79, v206
	v_fma_f16 v19, 0x3b9c, v188, v177
	v_add_f16_e64 v227, v217, v212
	v_fmac_f16_e64 v177, 0xbb9c, v188
	v_fmac_f16_e64 v4, 0x38b4, v206
	;; [unrolled: 1-line block ×4, first 2 shown]
	v_pack_b32_f16 v227, v227, v229
	v_fmac_f16_e64 v177, 0xb8b4, v186
	v_add_f16_e64 v9, v193, v4
	v_add_f16_e64 v18, v222, v17
	ds_store_2addr_b32 v173, v214, v227 offset1:10
	v_pack_b32_f16 v9, v9, v18
	v_sub_f16_e32 v18, v83, v81
	ds_store_2addr_b32 v173, v9, v0 offset0:40 offset1:50
	v_sub_f16_e64 v0, v217, v212
	v_sub_f16_e32 v9, v77, v16
	v_sub_f16_e64 v16, v175, v160
	v_fma_f16 v77, 0x3b9c, v189, v14
	v_fmac_f16_e64 v14, 0xbb9c, v189
	v_pack_b32_f16 v0, v0, v6
	v_pack_b32_f16 v1, v1, v9
	v_sub_f16_e32 v6, v99, v106
	v_sub_f16_e32 v9, v102, v100
	v_fmac_f16_e64 v77, 0x38b4, v184
	v_fmac_f16_e64 v14, 0xb8b4, v184
	ds_store_2addr_b32 v173, v0, v1 offset0:60 offset1:70
	v_sub_f16_e64 v0, v196, v7
	v_sub_f16_e64 v1, v193, v4
	;; [unrolled: 1-line block ×3, first 2 shown]
	v_sub_f16_e32 v17, v78, v76
	v_sub_f16_e64 v7, v174, v146
	v_pack_b32_f16 v0, v0, v2
	v_sub_f16_e64 v2, v86, v172
	v_pack_b32_f16 v1, v1, v4
	v_add_f16_e32 v17, v17, v18
	v_fma_f16 v18, 0xbb9c, v192, v180
	v_add_f16_e32 v6, v6, v7
	v_add_f16_e64 v7, v178, v100
	ds_store_2addr_b32 v173, v0, v1 offset0:80 offset1:90
	v_sub_f16_e32 v0, v86, v105
	v_sub_f16_e64 v1, v172, v135
	v_fmac_f16_e64 v18, 0xb8b4, v190
	v_add_f16_e32 v9, v9, v16
	v_add_f16_e64 v16, v181, v76
	v_add_f16_e64 v7, v7, v160
	v_add_f16_e32 v0, v0, v1
	v_add_f16_e64 v1, v176, v105
	v_fmac_f16_e32 v18, 0x34f2, v17
	v_add_f16_e32 v16, v16, v81
	v_fmac_f16_e32 v19, 0x34f2, v9
	v_add_f16_e64 v7, v7, v175
	v_add_f16_e64 v1, v1, v135
	v_mul_f16_e32 v76, 0x38b4, v18
	v_add_f16_e32 v16, v16, v83
	v_sub_f16_e64 v4, v105, v135
	v_fmac_f16_e32 v77, 0x34f2, v0
	v_add_f16_e64 v1, v1, v172
	v_add_lshl_u32 v172, v3, v5, 2
	v_add_f16_e64 v3, v156, v99
	v_fmac_f16_e32 v76, 0x3a79, v19
	v_mul_f16_e32 v19, 0xb8b4, v19
	v_add_f16_e32 v5, v1, v7
	v_fmac_f16_e64 v180, 0x3b9c, v192
	v_add_f16_e32 v3, v3, v106
	v_add_f16_e32 v79, v77, v76
	v_fmac_f16_e32 v19, 0x3a79, v18
	v_fmac_f16_e64 v177, 0x34f2, v9
	v_fmac_f16_e64 v180, 0x38b4, v190
	v_add_f16_e64 v3, v3, v146
	v_fmac_f16_e32 v14, 0x34f2, v0
	v_sub_f16_e32 v1, v1, v7
	v_mul_f16_e64 v0, 0xba79, v177
	v_fmac_f16_e64 v180, 0x34f2, v17
	v_add_f16_e64 v3, v3, v174
	v_sub_f16_e32 v7, v64, v63
	v_sub_f16_e32 v9, v62, v60
	v_fmamk_f16 v17, v48, 0x3b9c, v27
	v_fmac_f16_e64 v0, 0x38b4, v180
	v_add_f16_e32 v18, v3, v16
	v_sub_f16_e32 v3, v3, v16
	v_fmac_f16_e32 v27, 0xbb9c, v48
	v_fmac_f16_e32 v17, 0x38b4, v42
	s_delay_alu instid0(VALU_DEP_4) | instskip(SKIP_3) | instid1(VALU_DEP_3)
	v_pack_b32_f16 v5, v5, v18
	v_add_f16_e64 v18, v106, v146
	v_pack_b32_f16 v1, v1, v3
	v_fmac_f16_e32 v27, 0xb8b4, v42
	v_fma_f16 v18, -0.5, v18, v156
	s_delay_alu instid0(VALU_DEP_1) | instskip(SKIP_1) | instid1(VALU_DEP_2)
	v_fmamk_f16 v78, v2, 0xbb9c, v18
	v_fmac_f16_e32 v18, 0x3b9c, v2
	v_fmac_f16_e32 v78, 0xb8b4, v4
	s_delay_alu instid0(VALU_DEP_2) | instskip(NEXT) | instid1(VALU_DEP_2)
	v_fmac_f16_e32 v18, 0x38b4, v4
	v_fmac_f16_e32 v78, 0x34f2, v6
	s_delay_alu instid0(VALU_DEP_2) | instskip(NEXT) | instid1(VALU_DEP_2)
	v_fmac_f16_e32 v18, 0x34f2, v6
	v_add_f16_e32 v81, v78, v19
	s_delay_alu instid0(VALU_DEP_1)
	v_pack_b32_f16 v79, v79, v81
	v_mul_f16_e64 v81, 0xbb9c, v187
	ds_store_2addr_b32 v172, v5, v79 offset1:10
	v_add_f16_e64 v5, v99, v174
	v_sub_f16_e64 v79, v146, v174
	v_fmac_f16_e64 v81, 0x34f2, v191
	s_delay_alu instid0(VALU_DEP_3) | instskip(SKIP_1) | instid1(VALU_DEP_1)
	v_fmac_f16_e64 v156, -0.5, v5
	v_sub_f16_e32 v5, v106, v99
	v_add_f16_e32 v5, v5, v79
	s_delay_alu instid0(VALU_DEP_3) | instskip(SKIP_3) | instid1(VALU_DEP_4)
	v_fma_f16 v79, 0x3b9c, v4, v156
	v_fmac_f16_e64 v156, 0xbb9c, v4
	v_add_f16_e32 v4, v14, v0
	v_sub_f16_e32 v0, v14, v0
	v_fmac_f16_e32 v79, 0xb8b4, v2
	s_delay_alu instid0(VALU_DEP_4) | instskip(SKIP_1) | instid1(VALU_DEP_3)
	v_fmac_f16_e64 v156, 0x38b4, v2
	v_mul_f16_e64 v2, 0xba79, v180
	v_fmac_f16_e32 v79, 0x34f2, v5
	s_delay_alu instid0(VALU_DEP_3) | instskip(NEXT) | instid1(VALU_DEP_3)
	v_fmac_f16_e64 v156, 0x34f2, v5
	v_fmac_f16_e64 v2, 0xb8b4, v177
	v_mul_f16_e64 v5, 0x3b9c, v191
	s_delay_alu instid0(VALU_DEP_4) | instskip(NEXT) | instid1(VALU_DEP_3)
	v_add_f16_e32 v83, v79, v81
	v_add_f16_e32 v6, v18, v2
	s_delay_alu instid0(VALU_DEP_3) | instskip(SKIP_1) | instid1(VALU_DEP_3)
	v_fmac_f16_e64 v5, 0x34f2, v187
	v_sub_f16_e32 v2, v18, v2
	v_pack_b32_f16 v4, v4, v6
	s_delay_alu instid0(VALU_DEP_3)
	v_add_f16_e64 v80, v185, v5
	v_sub_f16_e64 v3, v185, v5
	v_sub_f16_e32 v5, v79, v81
	v_pack_b32_f16 v0, v0, v2
	ds_store_2addr_b32 v172, v4, v1 offset0:40 offset1:50
	v_sub_f16_e32 v1, v77, v76
	v_sub_f16_e32 v4, v78, v19
	v_pack_b32_f16 v3, v3, v5
	v_sub_f16_e32 v2, v13, v8
	v_sub_f16_e32 v5, v25, v24
	;; [unrolled: 1-line block ×3, first 2 shown]
	v_pack_b32_f16 v1, v1, v4
	v_sub_f16_e32 v4, v23, v22
	v_pack_b32_f16 v80, v80, v83
	v_add_f16_e64 v83, v156, v82
	v_add_f16_e32 v6, v6, v7
	ds_store_2addr_b32 v172, v1, v3 offset0:60 offset1:70
	v_sub_f16_e64 v1, v156, v82
	v_add_f16_e32 v4, v4, v5
	v_add_f16_e32 v5, v74, v61
	;; [unrolled: 1-line block ×3, first 2 shown]
	v_sub_f16_e32 v3, v26, v11
	v_pack_b32_f16 v1, v10, v1
	v_fmamk_f16 v10, v50, 0x3b9c, v39
	v_add_f16_e32 v5, v5, v63
	v_add_f16_e32 v7, v7, v60
	v_pack_b32_f16 v83, v197, v83
	ds_store_2addr_b32 v172, v1, v0 offset0:80 offset1:90
	v_sub_f16_e32 v0, v13, v26
	v_sub_f16_e32 v1, v8, v11
	v_add_f16_e32 v13, v38, v23
	v_add_f16_e32 v5, v5, v64
	;; [unrolled: 1-line block ×3, first 2 shown]
	v_fmac_f16_e32 v10, 0x38b4, v43
	v_add_f16_e32 v0, v0, v1
	v_add_f16_e32 v1, v57, v26
	;; [unrolled: 1-line block ×3, first 2 shown]
	v_fmac_f16_e32 v39, 0xbb9c, v50
	v_fmac_f16_e32 v10, 0x34f2, v6
	;; [unrolled: 1-line block ×3, first 2 shown]
	v_add_f16_e32 v1, v1, v11
	v_add_f16_e32 v13, v13, v24
	ds_store_2addr_b32 v172, v80, v83 offset0:20 offset1:30
	v_fmac_f16_e32 v39, 0xb8b4, v43
	v_fmac_f16_e32 v27, 0x34f2, v0
	v_add_f16_e32 v1, v1, v8
	v_sub_f16_e32 v8, v59, v58
	v_add_f16_e32 v13, v13, v25
	v_fmac_f16_e32 v39, 0x34f2, v6
	s_delay_alu instid0(VALU_DEP_4) | instskip(NEXT) | instid1(VALU_DEP_4)
	v_add_f16_e32 v14, v1, v5
	v_add_f16_e32 v8, v8, v9
	v_fmamk_f16 v9, v51, 0xbb9c, v40
	v_add_f16_e32 v16, v13, v7
	v_fmac_f16_e32 v40, 0x3b9c, v51
	v_mul_f16_e32 v0, 0xba79, v39
	v_sub_f16_e32 v1, v1, v5
	v_fmac_f16_e32 v9, 0xb8b4, v49
	v_pack_b32_f16 v14, v14, v16
	v_add_f16_e32 v16, v22, v24
	v_fmac_f16_e32 v40, 0x38b4, v49
	s_delay_alu instid0(VALU_DEP_4) | instskip(NEXT) | instid1(VALU_DEP_3)
	v_fmac_f16_e32 v9, 0x34f2, v8
	v_fma_f16 v16, -0.5, v16, v38
	s_delay_alu instid0(VALU_DEP_3) | instskip(NEXT) | instid1(VALU_DEP_3)
	v_fmac_f16_e32 v40, 0x34f2, v8
	v_mul_f16_e32 v11, 0x38b4, v9
	s_delay_alu instid0(VALU_DEP_3) | instskip(SKIP_1) | instid1(VALU_DEP_4)
	v_fmamk_f16 v18, v2, 0xbb9c, v16
	v_fmac_f16_e32 v16, 0x3b9c, v2
	v_fmac_f16_e32 v0, 0x38b4, v40
	s_delay_alu instid0(VALU_DEP_4) | instskip(SKIP_3) | instid1(VALU_DEP_4)
	v_fmac_f16_e32 v11, 0x3a79, v10
	v_mul_f16_e32 v10, 0xb8b4, v10
	v_fmac_f16_e32 v18, 0xb8b4, v3
	v_fmac_f16_e32 v16, 0x38b4, v3
	v_add_f16_e32 v19, v17, v11
	s_delay_alu instid0(VALU_DEP_4)
	v_fmac_f16_e32 v10, 0x3a79, v9
	v_mad_u16 v9, 0x64, v20, v21
	v_fmac_f16_e32 v18, 0x34f2, v4
	v_fmac_f16_e32 v16, 0x34f2, v4
	v_add_f16_e32 v4, v27, v0
	v_sub_f16_e32 v0, v27, v0
	v_and_b32_e32 v9, 0xffff, v9
	v_add_f16_e32 v20, v18, v10
	s_delay_alu instid0(VALU_DEP_2) | instskip(NEXT) | instid1(VALU_DEP_2)
	v_lshlrev_b32_e32 v171, 2, v9
	v_pack_b32_f16 v19, v19, v20
	v_add_f16_e32 v9, v23, v25
	v_mul_f16_e32 v20, 0xb4f2, v53
	ds_store_2addr_b32 v171, v14, v19 offset1:10
	v_fmac_f16_e32 v38, -0.5, v9
	v_sub_f16_e32 v9, v22, v23
	v_sub_f16_e32 v14, v24, v25
	v_mul_f16_e32 v19, 0xbb9c, v71
	v_fmac_f16_e32 v20, 0xbb9c, v56
	s_delay_alu instid0(VALU_DEP_3) | instskip(SKIP_4) | instid1(VALU_DEP_4)
	v_add_f16_e32 v9, v9, v14
	v_fmamk_f16 v14, v3, 0x3b9c, v38
	v_fmac_f16_e32 v38, 0xbb9c, v3
	v_sub_f16_e32 v3, v13, v7
	v_fmac_f16_e32 v19, 0x34f2, v73
	v_fmac_f16_e32 v14, 0xb8b4, v2
	s_delay_alu instid0(VALU_DEP_4) | instskip(SKIP_2) | instid1(VALU_DEP_4)
	v_fmac_f16_e32 v38, 0x38b4, v2
	v_mul_f16_e32 v2, 0xba79, v40
	v_pack_b32_f16 v1, v1, v3
	v_fmac_f16_e32 v14, 0x34f2, v9
	s_delay_alu instid0(VALU_DEP_4) | instskip(NEXT) | instid1(VALU_DEP_4)
	v_fmac_f16_e32 v38, 0x34f2, v9
	v_fmac_f16_e32 v2, 0xb8b4, v39
	v_mul_f16_e32 v9, 0x3b9c, v73
	s_delay_alu instid0(VALU_DEP_4) | instskip(NEXT) | instid1(VALU_DEP_3)
	v_add_f16_e32 v22, v14, v19
	v_add_f16_e32 v5, v16, v2
	s_delay_alu instid0(VALU_DEP_3) | instskip(SKIP_1) | instid1(VALU_DEP_3)
	v_fmac_f16_e32 v9, 0x34f2, v71
	v_sub_f16_e32 v2, v16, v2
	v_pack_b32_f16 v4, v4, v5
	s_delay_alu instid0(VALU_DEP_3) | instskip(SKIP_1) | instid1(VALU_DEP_4)
	v_sub_f16_e32 v3, v41, v9
	v_sub_f16_e32 v5, v14, v19
	v_pack_b32_f16 v0, v0, v2
	v_add_f16_e32 v21, v41, v9
	ds_store_2addr_b32 v171, v4, v1 offset0:40 offset1:50
	v_sub_f16_e32 v1, v17, v11
	v_sub_f16_e32 v4, v18, v10
	v_pack_b32_f16 v3, v3, v5
	v_pack_b32_f16 v21, v21, v22
	v_add_f16_e32 v22, v38, v20
	s_delay_alu instid0(VALU_DEP_4) | instskip(NEXT) | instid1(VALU_DEP_2)
	v_pack_b32_f16 v1, v1, v4
	v_pack_b32_f16 v22, v54, v22
	ds_store_2addr_b32 v171, v1, v3 offset0:60 offset1:70
	v_sub_f16_e32 v1, v38, v20
	ds_store_2addr_b32 v171, v21, v22 offset0:20 offset1:30
	v_pack_b32_f16 v1, v52, v1
	ds_store_2addr_b32 v171, v1, v0 offset0:80 offset1:90
	v_add_nc_u16 v0, v36, 0x1e0
	global_wb scope:SCOPE_SE
	s_wait_dscnt 0x0
	s_barrier_signal -1
	s_barrier_wait -1
	global_inv scope:SCOPE_SE
	v_lshrrev_b16 v1, 2, v0
	s_delay_alu instid0(VALU_DEP_1) | instskip(NEXT) | instid1(VALU_DEP_1)
	v_and_b32_e32 v1, 0xffff, v1
	v_mul_u32_u24_e32 v1, 0x147b, v1
	s_delay_alu instid0(VALU_DEP_1) | instskip(NEXT) | instid1(VALU_DEP_1)
	v_lshrrev_b32_e32 v13, 17, v1
	v_mul_lo_u16 v1, 0x64, v13
	s_delay_alu instid0(VALU_DEP_1) | instskip(SKIP_1) | instid1(VALU_DEP_1)
	v_sub_nc_u16 v14, v0, v1
	v_add_nc_u32_e32 v0, 0xffffff9c, v155
	v_cndmask_b32_e32 v38, v0, v155, vcc_lo
	s_delay_alu instid0(VALU_DEP_1) | instskip(SKIP_1) | instid1(VALU_DEP_2)
	v_mul_i32_i24_e32 v0, 20, v38
	v_mul_hi_i32_i24_e32 v1, 20, v38
	v_add_co_u32 v20, vcc_lo, s6, v0
	v_mul_lo_u16 v0, v14, 20
	s_wait_alu 0xfffd
	s_delay_alu instid0(VALU_DEP_3) | instskip(SKIP_1) | instid1(VALU_DEP_3)
	v_add_co_ci_u32_e32 v21, vcc_lo, s7, v1, vcc_lo
	v_cmp_lt_u16_e32 vcc_lo, 0x63, v36
	v_and_b32_e32 v0, 0xffff, v0
	s_delay_alu instid0(VALU_DEP_1)
	v_add_co_u32 v8, s2, s6, v0
	s_wait_alu 0xf1ff
	v_add_co_ci_u32_e64 v9, null, s7, 0, s2
	s_clause 0x1
	global_load_b32 v160, v[8:9], off offset:376
	global_load_b128 v[178:181], v[8:9], off offset:360
	ds_load_2addr_b32 v[23:24], v120 offset0:16 offset1:136
	ds_load_2addr_b32 v[25:26], v145 offset0:64 offset1:184
	;; [unrolled: 1-line block ×6, first 2 shown]
	s_wait_dscnt 0x5
	v_lshrrev_b32_e32 v0, 16, v23
	s_wait_dscnt 0x4
	v_lshrrev_b32_e32 v1, 16, v25
	;; [unrolled: 2-line block ×3, first 2 shown]
	v_lshrrev_b32_e32 v7, 16, v53
	s_wait_dscnt 0x1
	v_lshrrev_b32_e32 v2, 16, v60
	s_wait_dscnt 0x0
	v_lshrrev_b32_e32 v4, 16, v62
	v_lshrrev_b32_e32 v17, 16, v26
	s_wait_loadcnt 0x1
	v_lshrrev_b32_e32 v162, 16, v160
	s_wait_loadcnt 0x0
	v_lshrrev_b32_e32 v102, 16, v179
	v_lshrrev_b32_e32 v103, 16, v181
	;; [unrolled: 1-line block ×4, first 2 shown]
	v_mul_f16_e64 v3, v60, v162
	v_mul_f16_e32 v40, v23, v102
	v_mul_f16_e32 v42, v25, v103
	s_delay_alu instid0(VALU_DEP_4) | instskip(NEXT) | instid1(VALU_DEP_4)
	v_mul_f16_e64 v51, v62, v210
	v_fmac_f16_e64 v3, v2, v160
	s_delay_alu instid0(VALU_DEP_4)
	v_fmac_f16_e64 v40, v0, v179
	v_mul_f16_e32 v0, v0, v102
	v_fmac_f16_e64 v42, v1, v181
	v_mul_f16_e32 v1, v1, v103
	v_mul_f16_e64 v2, v2, v162
	v_fmac_f16_e64 v51, v4, v178
	v_fma_f16 v41, v23, v179, -v0
	s_clause 0x1
	global_load_b32 v212, v[20:21], off offset:376
	global_load_b128 v[20:23], v[20:21], off offset:360
	v_fma_f16 v43, v25, v181, -v1
	v_mul_f16_e64 v1, v58, v208
	v_mul_f16_e64 v4, v4, v210
	v_add_f16_e32 v50, v52, v41
	v_fma_f16 v2, v60, v160, -v2
	v_add_f16_e32 v0, v41, v43
	s_delay_alu instid0(VALU_DEP_4) | instskip(NEXT) | instid1(VALU_DEP_2)
	v_fma_f16 v56, v62, v178, -v4
	v_fmac_f16_e32 v52, -0.5, v0
	v_sub_f16_e32 v0, v40, v42
	s_delay_alu instid0(VALU_DEP_1) | instskip(SKIP_2) | instid1(VALU_DEP_1)
	v_fmamk_f16 v49, v0, 0x3aee, v52
	v_fmac_f16_e32 v52, 0xbaee, v0
	v_lshrrev_b32_e32 v0, 16, v58
	v_fmac_f16_e64 v1, v0, v180
	v_mul_f16_e64 v0, v0, v208
	s_delay_alu instid0(VALU_DEP_1) | instskip(NEXT) | instid1(VALU_DEP_1)
	v_fma_f16 v0, v58, v180, -v0
	v_add_f16_e32 v4, v0, v2
	v_add_f16_e32 v5, v56, v0
	v_sub_f16_e32 v0, v0, v2
	s_delay_alu instid0(VALU_DEP_3) | instskip(SKIP_1) | instid1(VALU_DEP_4)
	v_fmac_f16_e32 v56, -0.5, v4
	v_sub_f16_e32 v4, v1, v3
	v_add_f16_e32 v2, v5, v2
	s_delay_alu instid0(VALU_DEP_2) | instskip(SKIP_3) | instid1(VALU_DEP_4)
	v_fmamk_f16 v6, v4, 0x3aee, v56
	v_fmac_f16_e32 v56, 0xbaee, v4
	v_add_f16_e32 v4, v1, v3
	v_add_f16_e32 v1, v51, v1
	v_mul_f16_e32 v5, 0xbaee, v6
	s_delay_alu instid0(VALU_DEP_3) | instskip(NEXT) | instid1(VALU_DEP_3)
	v_fmac_f16_e32 v51, -0.5, v4
	v_add_f16_e32 v1, v1, v3
	s_delay_alu instid0(VALU_DEP_2) | instskip(SKIP_2) | instid1(VALU_DEP_3)
	v_fmamk_f16 v4, v0, 0xbaee, v51
	v_fmac_f16_e32 v51, 0x3aee, v0
	v_mul_f16_e32 v0, -0.5, v56
	v_mul_f16_e32 v3, 0x3aee, v4
	v_fmac_f16_e32 v5, 0.5, v4
	s_delay_alu instid0(VALU_DEP_3) | instskip(SKIP_1) | instid1(VALU_DEP_4)
	v_fmac_f16_e32 v0, 0x3aee, v51
	v_mad_u16 v4, 0x258, v13, v14
	v_fmac_f16_e32 v3, 0.5, v6
	s_delay_alu instid0(VALU_DEP_3) | instskip(SKIP_1) | instid1(VALU_DEP_4)
	v_add_f16_e32 v9, v52, v0
	v_sub_f16_e32 v0, v52, v0
	v_and_b32_e32 v4, 0xffff, v4
	s_wait_loadcnt 0x1
	v_lshrrev_b32_e32 v214, 16, v212
	s_wait_loadcnt 0x0
	v_lshrrev_b32_e32 v223, 16, v20
	v_lshrrev_b32_e32 v225, 16, v22
	;; [unrolled: 1-line block ×4, first 2 shown]
	v_mul_f16_e64 v18, v17, v214
	v_mul_f16_e64 v8, v7, v223
	;; [unrolled: 1-line block ×5, first 2 shown]
	v_fma_f16 v18, v26, v212, -v18
	v_fma_f16 v8, v53, v20, -v8
	ds_load_2addr_b32 v[52:53], v114 offset0:48 offset1:168
	v_fmac_f16_e32 v10, v7, v20
	v_lshrrev_b32_e32 v7, 16, v24
	v_fmac_f16_e64 v19, v17, v212
	s_delay_alu instid0(VALU_DEP_2) | instskip(SKIP_2) | instid1(VALU_DEP_3)
	v_mul_f16_e64 v11, v7, v225
	v_fmac_f16_e32 v16, v7, v22
	v_lshrrev_b16 v7, 2, v37
	v_fma_f16 v11, v24, v22, -v11
	v_mul_lo_u16 v24, 0x64, v12
	s_delay_alu instid0(VALU_DEP_3) | instskip(SKIP_1) | instid1(VALU_DEP_3)
	v_and_b32_e32 v7, 0xffff, v7
	v_and_b32_e32 v12, 0xffff, v12
	v_sub_nc_u16 v15, v15, v24
	s_delay_alu instid0(VALU_DEP_3)
	v_mul_u32_u24_e32 v7, 0x147b, v7
	s_wait_dscnt 0x0
	v_lshrrev_b32_e32 v24, 16, v52
	v_mul_f16_e64 v39, v52, v229
	v_lshrrev_b32_e32 v55, 16, v53
	v_and_b32_e32 v15, 0xff, v15
	v_lshrrev_b32_e32 v7, 17, v7
	v_mul_u32_u24_e32 v12, 0x258, v12
	v_fmac_f16_e32 v39, v24, v21
	v_mul_f16_e64 v24, v24, v229
	s_delay_alu instid0(VALU_DEP_4) | instskip(NEXT) | instid1(VALU_DEP_4)
	v_mul_lo_u16 v17, 0x64, v7
	v_add_lshl_u32 v196, v12, v15, 2
	s_delay_alu instid0(VALU_DEP_3)
	v_fma_f16 v54, v52, v21, -v24
	v_mad_co_u64_u32 v[24:25], null, v15, 20, s[6:7]
	s_clause 0x1
	global_load_b32 v177, v[24:25], off offset:376
	global_load_b128 v[24:27], v[24:25], off offset:360
	v_sub_nc_u16 v17, v37, v17
	v_add_nc_u16 v37, v36, 0x168
	s_wait_alu 0xfffd
	v_cndmask_b32_e64 v36, 0, 0x258, vcc_lo
	s_delay_alu instid0(VALU_DEP_3) | instskip(NEXT) | instid1(VALU_DEP_2)
	v_mad_u16 v7, 0x258, v7, v17
	v_add_lshl_u32 v193, v38, v36, 2
	s_delay_alu instid0(VALU_DEP_2)
	v_and_b32_e32 v7, 0xffff, v7
	s_wait_loadcnt 0x1
	v_lshrrev_b32_e32 v104, 16, v177
	s_wait_loadcnt 0x0
	v_lshrrev_b32_e32 v224, 16, v25
	v_lshrrev_b32_e32 v222, 16, v27
	;; [unrolled: 1-line block ×4, first 2 shown]
	s_delay_alu instid0(VALU_DEP_4) | instskip(SKIP_1) | instid1(VALU_DEP_2)
	v_mul_f16_e64 v52, v55, v224
	v_mul_f16_e64 v60, v53, v224
	v_fma_f16 v58, v53, v25, -v52
	ds_load_2addr_b32 v[52:53], v133 offset0:96 offset1:216
	v_fmac_f16_e32 v60, v55, v25
	s_wait_dscnt 0x0
	v_lshrrev_b32_e32 v62, 16, v52
	v_mul_f16_e64 v73, v52, v230
	v_mul_f16_e64 v80, v53, v222
	s_delay_alu instid0(VALU_DEP_3) | instskip(NEXT) | instid1(VALU_DEP_3)
	v_mul_f16_e64 v63, v62, v230
	v_fmac_f16_e32 v73, v62, v23
	s_delay_alu instid0(VALU_DEP_2) | instskip(SKIP_2) | instid1(VALU_DEP_4)
	v_fma_f16 v64, v52, v23, -v63
	v_lshrrev_b32_e32 v63, 16, v53
	v_lshrrev_b16 v52, 2, v37
	v_sub_f16_e64 v146, v39, v73
	s_delay_alu instid0(VALU_DEP_3) | instskip(NEXT) | instid1(VALU_DEP_3)
	v_mul_f16_e64 v69, v63, v222
	v_and_b32_e32 v52, 0xffff, v52
	v_fmac_f16_e32 v80, v63, v27
	ds_load_2addr_b32 v[62:63], v125 offset0:128 offset1:248
	v_fma_f16 v79, v53, v27, -v69
	v_mul_u32_u24_e32 v52, 0x147b, v52
	ds_load_2addr_b32 v[69:70], v141 offset0:48 offset1:168
	v_lshrrev_b32_e32 v81, 17, v52
	s_delay_alu instid0(VALU_DEP_1) | instskip(NEXT) | instid1(VALU_DEP_1)
	v_mul_lo_u16 v52, 0x64, v81
	v_sub_nc_u16 v82, v37, v52
	ds_load_2addr_b32 v[52:53], v134 offset1:120
	v_add_f16_e32 v37, v58, v79
	s_wait_dscnt 0x2
	v_mul_f16_e64 v55, v62, v227
	s_wait_dscnt 0x1
	v_lshrrev_b32_e32 v71, 16, v69
	v_mul_f16_e32 v86, v69, v104
	s_delay_alu instid0(VALU_DEP_2) | instskip(NEXT) | instid1(VALU_DEP_2)
	v_mul_f16_e32 v74, v71, v104
	v_fmac_f16_e64 v86, v71, v177
	ds_load_2addr_b32 v[71:72], v152 offset0:80 offset1:200
	s_wait_dscnt 0x1
	v_lshrrev_b32_e32 v83, 16, v53
	v_add_f16_e32 v84, v53, v58
	v_fmac_f16_e32 v53, -0.5, v37
	v_sub_f16_e32 v37, v60, v80
	v_lshrrev_b32_e32 v135, 16, v52
	s_delay_alu instid0(VALU_DEP_2)
	v_fmamk_f16 v85, v37, 0x3aee, v53
	v_fmac_f16_e32 v53, 0xbaee, v37
	v_lshrrev_b32_e32 v37, 16, v62
	s_wait_dscnt 0x0
	v_lshrrev_b32_e32 v75, 16, v71
	v_mul_f16_e64 v99, v71, v232
	s_delay_alu instid0(VALU_DEP_3) | instskip(SKIP_1) | instid1(VALU_DEP_3)
	v_fmac_f16_e32 v55, v37, v26
	v_mul_f16_e64 v37, v37, v227
	v_fmac_f16_e32 v99, v75, v24
	v_mul_f16_e64 v75, v75, v232
	s_delay_alu instid0(VALU_DEP_3) | instskip(SKIP_1) | instid1(VALU_DEP_4)
	v_fma_f16 v37, v62, v26, -v37
	v_fma_f16 v62, v69, v177, -v74
	v_add_f16_e32 v106, v99, v55
	s_delay_alu instid0(VALU_DEP_4) | instskip(NEXT) | instid1(VALU_DEP_3)
	v_fma_f16 v69, v71, v24, -v75
	v_add_f16_e32 v71, v37, v62
	s_delay_alu instid0(VALU_DEP_2) | instskip(SKIP_1) | instid1(VALU_DEP_3)
	v_add_f16_e32 v100, v69, v37
	v_sub_f16_e32 v37, v37, v62
	v_fmac_f16_e32 v69, -0.5, v71
	v_sub_f16_e32 v71, v55, v86
	s_delay_alu instid0(VALU_DEP_1) | instskip(SKIP_3) | instid1(VALU_DEP_2)
	v_fmamk_f16 v105, v71, 0x3aee, v69
	v_fmac_f16_e32 v69, 0xbaee, v71
	v_add_f16_e32 v71, v55, v86
	v_add_f16_e32 v55, v54, v64
	v_fmac_f16_e32 v99, -0.5, v71
	s_delay_alu instid0(VALU_DEP_2) | instskip(NEXT) | instid1(VALU_DEP_2)
	v_fma_f16 v108, -0.5, v55, v52
	v_fmamk_f16 v71, v37, 0xbaee, v99
	v_fmac_f16_e32 v99, 0x3aee, v37
	v_mul_f16_e32 v37, -0.5, v69
	s_delay_alu instid0(VALU_DEP_4) | instskip(SKIP_1) | instid1(VALU_DEP_3)
	v_fma_f16 v186, 0x3aee, v146, v108
	v_fmac_f16_e64 v108, 0xbaee, v146
	v_fmac_f16_e32 v37, 0x3aee, v99
	s_delay_alu instid0(VALU_DEP_1)
	v_add_f16_e32 v121, v53, v37
	v_sub_f16_e32 v126, v53, v37
	v_add_f16_e32 v37, v52, v54
	v_add_f16_e64 v52, v135, v39
	v_add_f16_e32 v53, v39, v73
	v_add_f16_e32 v39, v10, v16
	s_delay_alu instid0(VALU_DEP_4) | instskip(NEXT) | instid1(VALU_DEP_4)
	v_add_f16_e64 v175, v37, v64
	v_add_f16_e64 v156, v52, v73
	v_add_f16_e32 v37, v16, v19
	v_add_f16_e32 v52, v11, v18
	v_sub_f16_e32 v16, v16, v19
	v_add_f16_e32 v19, v39, v19
	v_fmac_f16_e64 v135, -0.5, v53
	v_fmac_f16_e32 v10, -0.5, v37
	v_add_f16_e32 v37, v8, v11
	v_sub_f16_e32 v11, v11, v18
	v_fmac_f16_e32 v8, -0.5, v52
	v_sub_f16_e32 v64, v54, v64
	s_delay_alu instid0(VALU_DEP_4) | instskip(NEXT) | instid1(VALU_DEP_4)
	v_add_f16_e32 v18, v37, v18
	v_fmamk_f16 v37, v11, 0xbaee, v10
	s_delay_alu instid0(VALU_DEP_4) | instskip(NEXT) | instid1(VALU_DEP_4)
	v_fmamk_f16 v39, v16, 0x3aee, v8
	v_fma_f16 v187, 0xbaee, v64, v135
	v_fmac_f16_e32 v8, 0xbaee, v16
	v_add_f16_e64 v36, v175, v18
	v_mul_f16_e64 v176, 0x3aee, v37
	v_mul_f16_e64 v183, 0xbaee, v39
	v_fmac_f16_e32 v10, 0x3aee, v11
	v_mul_f16_e32 v11, -0.5, v8
	v_fmac_f16_e64 v135, 0x3aee, v64
	v_fmac_f16_e64 v176, 0.5, v39
	v_fmac_f16_e64 v183, 0.5, v37
	v_add_f16_e64 v37, v156, v19
	v_fmac_f16_e32 v11, 0x3aee, v10
	v_mul_f16_e32 v10, -0.5, v10
	v_sub_f16_e64 v16, v156, v19
	s_delay_alu instid0(VALU_DEP_4)
	v_pack_b32_f16 v184, v36, v37
	v_add_f16_e64 v36, v186, v176
	v_add_f16_e64 v37, v187, v183
	v_fmac_f16_e32 v10, 0xbaee, v8
	v_sub_f16_e64 v8, v175, v18
	v_add_f16_e32 v18, v108, v11
	v_sub_f16_e32 v11, v108, v11
	v_pack_b32_f16 v188, v36, v37
	v_mul_lo_u16 v36, v82, 20
	v_mul_lo_u16 v37, v17, 20
	v_add_f16_e64 v19, v135, v10
	v_pack_b32_f16 v8, v8, v16
	v_add_nc_u32_e32 v16, 0x200, v193
	v_and_b32_e32 v36, 0xffff, v36
	v_and_b32_e32 v38, 0xffff, v37
	v_pack_b32_f16 v18, v18, v19
	v_sub_f16_e64 v10, v135, v10
	v_mul_f16_e32 v19, 0x3aee, v71
	v_add_co_u32 v36, s2, s6, v36
	s_wait_alu 0xf1ff
	v_add_co_ci_u32_e64 v37, null, s7, 0, s2
	v_add_co_u32 v38, s2, s6, v38
	s_wait_alu 0xf1ff
	v_add_co_ci_u32_e64 v39, null, s7, 0, s2
	s_clause 0x3
	global_load_b32 v174, v[36:37], off offset:376
	global_load_b32 v185, v[38:39], off offset:376
	global_load_b128 v[52:55], v[38:39], off offset:360
	global_load_b128 v[36:39], v[36:37], off offset:360
	ds_load_2addr_b32 v[73:74], v154 offset0:112 offset1:232
	ds_load_2addr_b32 v[75:76], v140 offset0:32 offset1:152
	;; [unrolled: 1-line block ×3, first 2 shown]
	global_wb scope:SCOPE_SE
	s_wait_loadcnt_dscnt 0x0
	s_barrier_signal -1
	s_barrier_wait -1
	global_inv scope:SCOPE_SE
	scratch_store_b32 off, v16, off offset:224 ; 4-byte Folded Spill
	ds_store_2addr_b32 v16, v18, v8 offset0:72 offset1:172
	v_sub_f16_e64 v8, v186, v176
	v_sub_f16_e64 v16, v187, v183
	ds_store_2addr_b32 v193, v184, v188 offset1:100
	v_pack_b32_f16 v10, v11, v10
	v_add_nc_u32_e32 v184, 0x400, v193
	v_add_f16_e32 v18, v106, v86
	v_pack_b32_f16 v8, v8, v16
	v_add_f16_e32 v16, v100, v62
	v_sub_f16_e32 v11, v58, v79
	v_mul_f16_e32 v58, 0xbaee, v105
	v_fmac_f16_e32 v19, 0.5, v105
	ds_store_2addr_b32 v184, v8, v10 offset0:144 offset1:244
	v_add_f16_e32 v8, v83, v60
	v_add_f16_e32 v10, v60, v80
	v_fmac_f16_e32 v58, 0.5, v71
	v_add_f16_e32 v60, v85, v19
	v_add_nc_u32_e32 v188, 0x400, v196
	v_add_f16_e32 v8, v8, v80
	v_fmac_f16_e32 v83, -0.5, v10
	v_add_f16_e32 v10, v84, v79
	v_lshrrev_b32_e32 v79, 16, v59
	v_lshlrev_b32_e32 v186, 2, v4
	v_add_f16_e32 v15, v8, v18
	v_sub_f16_e32 v8, v8, v18
	v_add_f16_e32 v12, v10, v16
	v_sub_f16_e32 v10, v10, v16
	v_lshrrev_b32_e32 v18, 16, v70
	v_mul_f16_e32 v4, -0.5, v51
	s_add_nc_u64 s[2:3], s[4:5], 0x3840
	v_pack_b32_f16 v12, v12, v15
	v_fmamk_f16 v15, v11, 0xbaee, v83
	v_fmac_f16_e32 v83, 0x3aee, v11
	v_mul_f16_e32 v11, -0.5, v99
	v_pack_b32_f16 v8, v10, v8
	v_add_nc_u32_e32 v10, 0x200, v196
	v_add_f16_e32 v62, v15, v58
	v_fmac_f16_e32 v4, 0xbaee, v56
	v_fmac_f16_e32 v11, 0xbaee, v69
	scratch_store_b32 off, v10, off offset:220 ; 4-byte Folded Spill
	v_pack_b32_f16 v60, v60, v62
	v_lshrrev_b32_e32 v62, 16, v76
	ds_store_2addr_b32 v196, v12, v60 offset1:100
	v_add_f16_e32 v12, v83, v11
	v_sub_f16_e32 v11, v83, v11
	v_lshrrev_b32_e32 v60, 16, v75
	s_delay_alu instid0(VALU_DEP_3) | instskip(SKIP_4) | instid1(VALU_DEP_2)
	v_pack_b32_f16 v12, v121, v12
	ds_store_2addr_b32 v10, v12, v8 offset0:72 offset1:172
	v_sub_f16_e32 v8, v85, v19
	v_sub_f16_e32 v10, v15, v58
	v_lshrrev_b32_e32 v12, 16, v63
	v_pack_b32_f16 v8, v8, v10
	v_pack_b32_f16 v10, v126, v11
	ds_store_2addr_b32 v188, v8, v10 offset0:144 offset1:244
	v_lshrrev_b32_e32 v8, 16, v72
	v_lshrrev_b32_e32 v100, 16, v174
	;; [unrolled: 1-line block ×7, first 2 shown]
	v_mul_f16_e64 v58, v70, v199
	v_mul_f16_e64 v11, v72, v146
	;; [unrolled: 1-line block ×3, first 2 shown]
	v_mul_f16_e32 v16, v63, v121
	v_mul_f16_e32 v15, v12, v121
	v_mul_f16_e64 v19, v18, v199
	v_fmac_f16_e32 v11, v8, v52
	v_lshrrev_b32_e32 v8, 16, v61
	v_fmac_f16_e32 v16, v12, v54
	v_fmac_f16_e64 v58, v18, v185
	v_mul_f16_e64 v18, v61, v252
	v_lshrrev_b32_e32 v99, 16, v37
	v_mul_f16_e64 v12, v8, v252
	v_lshrrev_b32_e32 v187, 16, v55
	v_fma_f16 v10, v72, v52, -v10
	v_fma_f16 v15, v63, v54, -v15
	v_mul_f16_e32 v63, v62, v99
	v_fma_f16 v12, v61, v36, -v12
	v_mul_f16_e64 v61, v75, v183
	v_lshrrev_b32_e32 v72, 16, v77
	v_mul_f16_e32 v69, v76, v99
	v_fma_f16 v63, v76, v37, -v63
	v_lshrrev_b32_e32 v76, 16, v78
	v_fmac_f16_e32 v61, v60, v53
	v_mul_f16_e64 v60, v60, v183
	v_lshrrev_b32_e32 v108, 16, v39
	v_fma_f16 v19, v70, v185, -v19
	v_lshrrev_b32_e32 v70, 16, v57
	v_lshrrev_b32_e32 v64, 16, v38
	v_fma_f16 v60, v75, v53, -v60
	v_mul_f16_e64 v75, v77, v187
	v_mul_f16_e32 v80, v79, v100
	v_fmac_f16_e32 v18, v8, v36
	v_mul_f16_e32 v71, v70, v64
	v_fmac_f16_e32 v69, v62, v37
	v_fmac_f16_e32 v75, v72, v55
	v_mul_f16_e64 v72, v72, v187
	v_fma_f16 v80, v59, v174, -v80
	v_fma_f16 v71, v57, v38, -v71
	v_mul_f16_e32 v57, v57, v64
	v_mul_f16_e32 v59, v59, v100
	v_fma_f16 v72, v77, v55, -v72
	v_mul_f16_e32 v77, v76, v108
	v_lshrrev_b32_e32 v62, 16, v74
	v_fmac_f16_e32 v57, v70, v38
	v_add_f16_e32 v70, v74, v63
	v_fmac_f16_e64 v59, v79, v174
	v_fma_f16 v77, v78, v39, -v77
	v_mul_f16_e32 v78, v78, v108
	v_add_f16_e32 v79, v12, v71
	v_add_f16_e32 v84, v60, v72
	;; [unrolled: 1-line block ×4, first 2 shown]
	v_fmac_f16_e32 v78, v76, v39
	s_delay_alu instid0(VALU_DEP_4) | instskip(NEXT) | instid1(VALU_DEP_3)
	v_fma_f16 v84, -0.5, v84, v73
	v_fmac_f16_e32 v74, -0.5, v8
	s_delay_alu instid0(VALU_DEP_3) | instskip(NEXT) | instid1(VALU_DEP_1)
	v_sub_f16_e32 v8, v69, v78
	v_fmamk_f16 v76, v8, 0x3aee, v74
	v_fmac_f16_e32 v74, 0xbaee, v8
	v_add_f16_e32 v8, v71, v80
	s_delay_alu instid0(VALU_DEP_1) | instskip(SKIP_1) | instid1(VALU_DEP_1)
	v_fmac_f16_e32 v12, -0.5, v8
	v_sub_f16_e32 v8, v57, v59
	v_fmamk_f16 v83, v8, 0x3aee, v12
	v_fmac_f16_e32 v12, 0xbaee, v8
	v_add_f16_e32 v8, v57, v59
	v_add_f16_e32 v57, v18, v57
	s_delay_alu instid0(VALU_DEP_2) | instskip(SKIP_1) | instid1(VALU_DEP_1)
	v_fmac_f16_e32 v18, -0.5, v8
	v_sub_f16_e32 v8, v71, v80
	v_fmamk_f16 v71, v8, 0xbaee, v18
	v_fmac_f16_e32 v18, 0x3aee, v8
	v_mul_f16_e32 v8, -0.5, v12
	s_delay_alu instid0(VALU_DEP_1) | instskip(NEXT) | instid1(VALU_DEP_1)
	v_fmac_f16_e32 v8, 0x3aee, v18
	v_add_f16_e32 v85, v74, v8
	v_sub_f16_e32 v8, v74, v8
	v_lshrrev_b32_e32 v74, 16, v73
	v_add_f16_e32 v73, v73, v60
	v_sub_f16_e32 v60, v60, v72
	s_delay_alu instid0(VALU_DEP_3) | instskip(NEXT) | instid1(VALU_DEP_3)
	v_add_f16_e32 v86, v74, v61
	v_add_f16_e32 v73, v73, v72
	;; [unrolled: 1-line block ×3, first 2 shown]
	v_sub_f16_e32 v61, v61, v75
	v_fmac_f16_e32 v74, -0.5, v105
	v_add_f16_e32 v75, v86, v75
	v_add_f16_e32 v86, v11, v16
	v_fmac_f16_e32 v11, -0.5, v72
	v_add_f16_e32 v72, v10, v15
	v_add_f16_e32 v105, v15, v19
	v_sub_f16_e32 v15, v15, v19
	v_sub_f16_e32 v16, v16, v58
	v_add_f16_e32 v58, v86, v58
	v_add_f16_e32 v19, v72, v19
	v_fmac_f16_e32 v10, -0.5, v105
	v_fmamk_f16 v72, v15, 0xbaee, v11
	v_fmamk_f16 v126, v60, 0xbaee, v74
	v_fmac_f16_e32 v11, 0x3aee, v15
	v_add_f16_e32 v17, v73, v19
	v_fmamk_f16 v86, v16, 0x3aee, v10
	v_mul_f16_e32 v106, 0x3aee, v72
	v_fmac_f16_e32 v10, 0xbaee, v16
	v_fmac_f16_e32 v74, 0x3aee, v60
	v_sub_f16_e32 v15, v75, v58
	s_delay_alu instid0(VALU_DEP_4) | instskip(SKIP_1) | instid1(VALU_DEP_1)
	v_fmac_f16_e32 v106, 0.5, v86
	v_mul_f16_e32 v86, 0xbaee, v86
	v_fmac_f16_e32 v86, 0.5, v72
	v_add_f16_e32 v72, v75, v58
	s_delay_alu instid0(VALU_DEP_2) | instskip(NEXT) | instid1(VALU_DEP_2)
	v_add_f16_e64 v135, v126, v86
	v_pack_b32_f16 v17, v17, v72
	v_fmamk_f16 v72, v61, 0x3aee, v84
	v_fmac_f16_e32 v84, 0xbaee, v61
	s_delay_alu instid0(VALU_DEP_2) | instskip(NEXT) | instid1(VALU_DEP_1)
	v_add_f16_e32 v105, v72, v106
	v_pack_b32_f16 v135, v105, v135
	v_lshlrev_b32_e32 v105, 2, v7
	v_mul_f16_e32 v7, -0.5, v10
	ds_store_2addr_b32 v105, v17, v135 offset1:100
	v_fmac_f16_e32 v7, 0x3aee, v11
	v_mul_f16_e32 v11, -0.5, v11
	v_add_nc_u32_e32 v198, 0x200, v105
	s_delay_alu instid0(VALU_DEP_3) | instskip(NEXT) | instid1(VALU_DEP_3)
	v_add_f16_e32 v16, v84, v7
	v_fmac_f16_e32 v11, 0xbaee, v10
	v_sub_f16_e32 v10, v73, v19
	v_sub_f16_e32 v7, v84, v7
	v_mul_f16_e32 v19, 0xbaee, v83
	s_delay_alu instid0(VALU_DEP_4) | instskip(NEXT) | instid1(VALU_DEP_4)
	v_add_f16_e32 v17, v74, v11
	v_pack_b32_f16 v10, v10, v15
	v_sub_f16_e32 v15, v126, v86
	v_sub_f16_e32 v11, v74, v11
	v_fmac_f16_e32 v19, 0.5, v71
	v_pack_b32_f16 v16, v16, v17
	v_mul_f16_e32 v17, 0x3aee, v71
	s_delay_alu instid0(VALU_DEP_4)
	v_pack_b32_f16 v7, v7, v11
	v_add_nc_u32_e32 v11, 0x400, v105
	ds_store_2addr_b32 v198, v16, v10 offset0:72 offset1:172
	v_sub_f16_e32 v10, v72, v106
	v_add_f16_e32 v16, v57, v59
	v_mad_u16 v57, 0x258, v81, v82
	v_fmac_f16_e32 v17, 0.5, v83
	s_delay_alu instid0(VALU_DEP_4) | instskip(SKIP_1) | instid1(VALU_DEP_4)
	v_pack_b32_f16 v10, v10, v15
	v_add_f16_e32 v15, v79, v80
	v_and_b32_e32 v57, 0xffff, v57
	s_delay_alu instid0(VALU_DEP_4)
	v_add_f16_e32 v60, v76, v17
	ds_store_2addr_b32 v11, v10, v7 offset0:144 offset1:244
	v_add_f16_e32 v7, v62, v69
	v_add_f16_e32 v10, v69, v78
	v_lshlrev_b32_e32 v189, 2, v57
	v_mad_co_u64_u32 v[56:57], null, v155, 20, s[6:7]
	s_delay_alu instid0(VALU_DEP_4) | instskip(NEXT) | instid1(VALU_DEP_4)
	v_add_f16_e32 v7, v7, v78
	v_fmac_f16_e32 v62, -0.5, v10
	v_add_f16_e32 v10, v70, v77
	s_delay_alu instid0(VALU_DEP_3) | instskip(SKIP_1) | instid1(VALU_DEP_3)
	v_add_f16_e32 v59, v7, v16
	v_sub_f16_e32 v7, v7, v16
	v_add_f16_e32 v58, v10, v15
	v_sub_f16_e32 v10, v10, v15
	s_delay_alu instid0(VALU_DEP_2) | instskip(NEXT) | instid1(VALU_DEP_2)
	v_pack_b32_f16 v58, v58, v59
	v_pack_b32_f16 v7, v10, v7
	v_add_nc_u32_e32 v10, 0x200, v189
	scratch_store_b32 off, v11, off offset:216 ; 4-byte Folded Spill
	v_sub_f16_e32 v11, v63, v77
	scratch_store_b32 off, v10, off offset:208 ; 4-byte Folded Spill
	v_fmamk_f16 v59, v11, 0xbaee, v62
	v_fmac_f16_e32 v62, 0x3aee, v11
	v_mul_f16_e32 v11, -0.5, v18
	s_delay_alu instid0(VALU_DEP_3) | instskip(NEXT) | instid1(VALU_DEP_2)
	v_add_f16_e32 v61, v59, v19
	v_fmac_f16_e32 v11, 0xbaee, v12
	s_delay_alu instid0(VALU_DEP_2) | instskip(NEXT) | instid1(VALU_DEP_2)
	v_pack_b32_f16 v60, v60, v61
	v_add_f16_e32 v12, v62, v11
	v_sub_f16_e32 v11, v62, v11
	ds_store_2addr_b32 v189, v58, v60 offset1:100
	v_pack_b32_f16 v12, v85, v12
	v_pack_b32_f16 v8, v8, v11
	ds_store_2addr_b32 v10, v12, v7 offset0:72 offset1:172
	v_sub_f16_e32 v7, v76, v17
	v_sub_f16_e32 v10, v59, v19
	v_add_f16_e32 v12, v49, v3
	s_delay_alu instid0(VALU_DEP_2) | instskip(SKIP_4) | instid1(VALU_DEP_2)
	v_pack_b32_f16 v7, v7, v10
	v_add_nc_u32_e32 v10, 0x400, v189
	ds_store_2addr_b32 v10, v7, v8 offset0:144 offset1:244
	v_add_f16_e32 v7, v48, v40
	v_add_f16_e32 v8, v40, v42
	;; [unrolled: 1-line block ×3, first 2 shown]
	s_delay_alu instid0(VALU_DEP_2) | instskip(SKIP_1) | instid1(VALU_DEP_3)
	v_fmac_f16_e32 v48, -0.5, v8
	v_add_f16_e32 v8, v50, v43
	v_add_f16_e32 v11, v7, v1
	v_sub_f16_e32 v1, v7, v1
	s_delay_alu instid0(VALU_DEP_3) | instskip(SKIP_1) | instid1(VALU_DEP_2)
	v_add_f16_e32 v6, v8, v2
	v_sub_f16_e32 v2, v8, v2
	v_pack_b32_f16 v6, v6, v11
	s_delay_alu instid0(VALU_DEP_2)
	v_pack_b32_f16 v1, v2, v1
	v_add_nc_u32_e32 v2, 0x200, v186
	scratch_store_b32 off, v10, off offset:212 ; 4-byte Folded Spill
	v_sub_f16_e32 v10, v41, v43
	scratch_store_b32 off, v2, off offset:200 ; 4-byte Folded Spill
	v_fmamk_f16 v11, v10, 0xbaee, v48
	v_fmac_f16_e32 v48, 0x3aee, v10
	s_delay_alu instid0(VALU_DEP_2) | instskip(NEXT) | instid1(VALU_DEP_1)
	v_add_f16_e32 v13, v11, v5
	v_pack_b32_f16 v12, v12, v13
	ds_store_2addr_b32 v186, v6, v12 offset1:100
	v_add_f16_e32 v6, v48, v4
	s_delay_alu instid0(VALU_DEP_1) | instskip(SKIP_4) | instid1(VALU_DEP_2)
	v_pack_b32_f16 v6, v9, v6
	ds_store_2addr_b32 v2, v6, v1 offset0:72 offset1:172
	v_sub_f16_e32 v1, v49, v3
	v_sub_f16_e32 v2, v11, v5
	;; [unrolled: 1-line block ×3, first 2 shown]
	v_pack_b32_f16 v1, v1, v2
	s_delay_alu instid0(VALU_DEP_2)
	v_pack_b32_f16 v0, v0, v3
	v_add_nc_u32_e32 v2, 0x400, v186
	scratch_store_b32 off, v2, off offset:204 ; 4-byte Folded Spill
	ds_store_2addr_b32 v2, v1, v0 offset0:144 offset1:244
	global_wb scope:SCOPE_SE
	s_wait_storecnt_dscnt 0x0
	s_barrier_signal -1
	s_barrier_wait -1
	global_inv scope:SCOPE_SE
	s_clause 0x1
	global_load_b32 v156, v[56:57], off offset:11976
	global_load_b128 v[204:207], v[56:57], off offset:11960
	ds_load_2addr_b32 v[48:49], v120 offset0:16 offset1:136
	ds_load_2addr_b32 v[50:51], v145 offset0:64 offset1:184
	;; [unrolled: 1-line block ×6, first 2 shown]
	s_clause 0x1
	global_load_b32 v213, v[56:57], off offset:2376
	global_load_b128 v[40:43], v[56:57], off offset:2360
	s_wait_dscnt 0x5
	v_lshrrev_b32_e32 v0, 16, v48
	s_wait_dscnt 0x4
	v_lshrrev_b32_e32 v1, 16, v50
	;; [unrolled: 2-line block ×3, first 2 shown]
	v_lshrrev_b32_e32 v5, 16, v51
	s_wait_dscnt 0x1
	v_lshrrev_b32_e32 v2, 16, v85
	s_wait_dscnt 0x0
	v_lshrrev_b32_e32 v3, 16, v191
	v_lshrrev_b32_e32 v117, 16, v82
	;; [unrolled: 1-line block ×3, first 2 shown]
	s_wait_loadcnt 0x3
	v_lshrrev_b32_e32 v192, 16, v156
	s_wait_loadcnt 0x2
	v_lshrrev_b32_e32 v80, 16, v205
	v_lshrrev_b32_e32 v106, 16, v207
	;; [unrolled: 1-line block ×4, first 2 shown]
	v_mul_f16_e64 v78, v85, v192
	v_mul_f16_e32 v71, v48, v80
	v_mul_f16_e32 v73, v50, v106
	s_wait_loadcnt 0x0
	v_lshrrev_b32_e32 v242, 16, v40
	v_mul_f16_e64 v74, v191, v211
	v_fmac_f16_e64 v78, v2, v156
	v_fmac_f16_e64 v71, v0, v205
	v_mul_f16_e32 v0, v0, v80
	v_fmac_f16_e64 v73, v1, v207
	v_mul_f16_e32 v1, v1, v106
	v_mul_f16_e64 v2, v2, v192
	v_fmac_f16_e64 v74, v3, v204
	v_fma_f16 v72, v48, v205, -v0
	v_mul_f16_e64 v3, v3, v211
	v_fma_f16 v75, v50, v207, -v1
	v_mul_f16_e64 v1, v83, v209
	v_fma_f16 v6, v85, v156, -v2
	v_add_f16_e32 v77, v58, v72
	v_fma_f16 v76, v191, v204, -v3
	v_add_f16_e32 v0, v72, v75
	v_lshrrev_b32_e32 v240, 16, v42
	v_lshrrev_b32_e32 v215, 16, v213
	;; [unrolled: 1-line block ×4, first 2 shown]
	v_fmac_f16_e32 v58, -0.5, v0
	v_sub_f16_e32 v0, v71, v73
	v_mul_f16_e64 v13, v5, v215
	v_mul_f16_e64 v4, v49, v240
	;; [unrolled: 1-line block ×3, first 2 shown]
	s_delay_alu instid0(VALU_DEP_4) | instskip(SKIP_4) | instid1(VALU_DEP_3)
	v_fmamk_f16 v70, v0, 0x3aee, v58
	v_fmac_f16_e32 v58, 0xbaee, v0
	v_lshrrev_b32_e32 v0, 16, v83
	v_fma_f16 v13, v51, v213, -v13
	v_fmac_f16_e64 v14, v5, v213
	v_fmac_f16_e64 v1, v0, v206
	v_mul_f16_e64 v0, v0, v209
	s_delay_alu instid0(VALU_DEP_2) | instskip(NEXT) | instid1(VALU_DEP_2)
	v_add_f16_e32 v9, v74, v1
	v_fma_f16 v0, v83, v206, -v0
	s_delay_alu instid0(VALU_DEP_1) | instskip(SKIP_2) | instid1(VALU_DEP_3)
	v_add_f16_e32 v2, v0, v6
	v_add_f16_e32 v7, v76, v0
	v_sub_f16_e32 v0, v0, v6
	v_fmac_f16_e32 v76, -0.5, v2
	v_sub_f16_e32 v2, v1, v78
	s_delay_alu instid0(VALU_DEP_4) | instskip(SKIP_1) | instid1(VALU_DEP_3)
	v_add_f16_e32 v6, v7, v6
	v_add_f16_e32 v7, v9, v78
	v_fmamk_f16 v8, v2, 0x3aee, v76
	v_fmac_f16_e32 v76, 0xbaee, v2
	v_add_f16_e32 v2, v1, v78
	v_lshrrev_b32_e32 v1, 16, v59
	s_delay_alu instid0(VALU_DEP_2) | instskip(NEXT) | instid1(VALU_DEP_2)
	v_fmac_f16_e32 v74, -0.5, v2
	v_mul_f16_e64 v2, v1, v242
	s_delay_alu instid0(VALU_DEP_2) | instskip(SKIP_2) | instid1(VALU_DEP_4)
	v_fmamk_f16 v10, v0, 0xbaee, v74
	v_fmac_f16_e32 v74, 0x3aee, v0
	v_mul_f16_e32 v0, -0.5, v76
	v_fma_f16 v2, v59, v40, -v2
	s_delay_alu instid0(VALU_DEP_4) | instskip(NEXT) | instid1(VALU_DEP_3)
	v_mul_f16_e32 v9, 0x3aee, v10
	v_fmac_f16_e32 v0, 0x3aee, v74
	s_delay_alu instid0(VALU_DEP_2) | instskip(SKIP_1) | instid1(VALU_DEP_3)
	v_fmac_f16_e32 v9, 0.5, v8
	v_mul_f16_e32 v8, 0xbaee, v8
	v_add_f16_e32 v11, v58, v0
	v_sub_f16_e32 v12, v58, v0
	v_mul_f16_e64 v0, v59, v242
	ds_load_2addr_b32 v[58:59], v114 offset0:48 offset1:168
	v_fmac_f16_e32 v8, 0.5, v10
	v_add_f16_e32 v10, v70, v9
	v_fmac_f16_e32 v0, v1, v40
	v_lshrrev_b32_e32 v1, 16, v49
	s_delay_alu instid0(VALU_DEP_1) | instskip(SKIP_1) | instid1(VALU_DEP_2)
	v_mul_f16_e64 v3, v1, v240
	v_fmac_f16_e32 v4, v1, v42
	v_fma_f16 v3, v49, v42, -v3
	s_clause 0x1
	global_load_b32 v217, v[56:57], off offset:4776
	global_load_b128 v[48:51], v[56:57], off offset:4760
	ds_load_2addr_b32 v[175:176], v125 offset0:128 offset1:248
	ds_load_2addr_b32 v[85:86], v141 offset0:48 offset1:168
	;; [unrolled: 1-line block ×3, first 2 shown]
	s_wait_dscnt 0x3
	v_lshrrev_b32_e32 v15, 16, v58
	v_mul_f16_e64 v16, v58, v245
	v_lshrrev_b32_e32 v17, 16, v59
	s_delay_alu instid0(VALU_DEP_2) | instskip(SKIP_1) | instid1(VALU_DEP_1)
	v_fmac_f16_e32 v16, v15, v41
	v_mul_f16_e64 v15, v15, v245
	v_fma_f16 v15, v58, v41, -v15
	s_wait_dscnt 0x0
	v_lshrrev_b32_e32 v81, 16, v236
	s_wait_loadcnt 0x1
	v_lshrrev_b32_e32 v219, 16, v217
	s_wait_loadcnt 0x0
	v_lshrrev_b32_e32 v248, 16, v49
	v_lshrrev_b32_e32 v246, 16, v51
	;; [unrolled: 1-line block ×4, first 2 shown]
	v_mul_f16_e64 v79, v85, v219
	v_mul_f16_e64 v18, v17, v248
	;; [unrolled: 1-line block ×3, first 2 shown]
	s_delay_alu instid0(VALU_DEP_4) | instskip(NEXT) | instid1(VALU_DEP_3)
	v_mul_f16_e64 v101, v236, v250
	v_fma_f16 v18, v59, v49, -v18
	ds_load_2addr_b32 v[58:59], v133 offset0:96 offset1:216
	v_fmac_f16_e32 v19, v17, v49
	v_fmac_f16_e32 v101, v81, v48
	v_mul_f16_e64 v81, v81, v250
	s_wait_dscnt 0x0
	v_lshrrev_b32_e32 v60, 16, v58
	v_lshrrev_b32_e32 v62, 16, v59
	v_mul_f16_e64 v191, v59, v246
	s_delay_alu instid0(VALU_DEP_3) | instskip(NEXT) | instid1(VALU_DEP_3)
	v_mul_f16_e64 v61, v60, v251
	v_mul_f16_e64 v63, v62, v246
	s_delay_alu instid0(VALU_DEP_3) | instskip(SKIP_1) | instid1(VALU_DEP_4)
	v_fmac_f16_e64 v191, v62, v51
	v_lshrrev_b32_e32 v62, 16, v85
	v_fma_f16 v61, v58, v43, -v61
	s_delay_alu instid0(VALU_DEP_4)
	v_fma_f16 v83, v59, v51, -v63
	v_mul_f16_e64 v63, v58, v251
	ds_load_2addr_b32 v[58:59], v134 offset1:120
	v_fmac_f16_e64 v79, v62, v217
	v_mul_f16_e64 v62, v62, v219
	v_add_f16_e32 v1, v18, v83
	v_fmac_f16_e32 v63, v60, v43
	v_mul_f16_e64 v60, v175, v249
	s_delay_alu instid0(VALU_DEP_4)
	v_fma_f16 v62, v85, v217, -v62
	v_fma_f16 v85, v236, v48, -v81
	s_wait_dscnt 0x0
	v_lshrrev_b32_e32 v17, 16, v59
	v_add_f16_e32 v5, v59, v18
	v_fmac_f16_e32 v59, -0.5, v1
	v_sub_f16_e64 v1, v19, v191
	s_delay_alu instid0(VALU_DEP_3) | instskip(NEXT) | instid1(VALU_DEP_2)
	v_add_f16_e64 v148, v5, v83
	v_fma_f16 v201, 0x3aee, v1, v59
	v_fmac_f16_e32 v59, 0xbaee, v1
	v_lshrrev_b32_e32 v1, 16, v175
	s_delay_alu instid0(VALU_DEP_1) | instskip(SKIP_1) | instid1(VALU_DEP_1)
	v_fmac_f16_e32 v60, v1, v50
	v_mul_f16_e64 v1, v1, v249
	v_fma_f16 v1, v175, v50, -v1
	s_delay_alu instid0(VALU_DEP_1) | instskip(SKIP_2) | instid1(VALU_DEP_3)
	v_add_f16_e32 v81, v1, v62
	v_add_f16_e32 v126, v85, v1
	v_sub_f16_e32 v1, v1, v62
	v_fmac_f16_e32 v85, -0.5, v81
	v_sub_f16_e32 v81, v60, v79
	s_delay_alu instid0(VALU_DEP_4) | instskip(NEXT) | instid1(VALU_DEP_2)
	v_add_f16_e32 v110, v126, v62
	v_fma_f16 v142, 0x3aee, v81, v85
	v_fmac_f16_e32 v85, 0xbaee, v81
	v_add_f16_e32 v81, v60, v79
	v_add_f16_e32 v60, v101, v60
	s_delay_alu instid0(VALU_DEP_2) | instskip(SKIP_1) | instid1(VALU_DEP_3)
	v_fmac_f16_e32 v101, -0.5, v81
	v_add_f16_e32 v81, v15, v61
	v_add_f16_e64 v147, v60, v79
	v_lshrrev_b32_e32 v79, 16, v86
	s_delay_alu instid0(VALU_DEP_4) | instskip(SKIP_3) | instid1(VALU_DEP_2)
	v_fma_f16 v143, 0xbaee, v1, v101
	v_fmac_f16_e32 v101, 0x3aee, v1
	v_mul_f16_e32 v1, -0.5, v85
	v_fma_f16 v81, -0.5, v81, v58
	v_fmac_f16_e32 v1, 0x3aee, v101
	s_delay_alu instid0(VALU_DEP_1)
	v_add_f16_e64 v144, v59, v1
	v_sub_f16_e32 v109, v59, v1
	v_lshrrev_b32_e32 v1, 16, v58
	v_add_f16_e32 v59, v16, v63
	v_add_f16_e32 v58, v58, v15
	v_sub_f16_e32 v15, v15, v61
	s_delay_alu instid0(VALU_DEP_4) | instskip(NEXT) | instid1(VALU_DEP_4)
	v_add_f16_e64 v135, v1, v16
	v_fmac_f16_e32 v1, -0.5, v59
	s_delay_alu instid0(VALU_DEP_4) | instskip(SKIP_1) | instid1(VALU_DEP_3)
	v_add_f16_e32 v58, v58, v61
	v_sub_f16_e32 v16, v16, v63
	v_fmamk_f16 v61, v15, 0xbaee, v1
	v_fmac_f16_e32 v1, 0x3aee, v15
	v_add_f16_e32 v15, v3, v13
	s_delay_alu instid0(VALU_DEP_4)
	v_fmamk_f16 v59, v16, 0x3aee, v81
	v_fmac_f16_e32 v81, 0xbaee, v16
	v_add_f16_e64 v16, v135, v63
	v_add_f16_e32 v63, v2, v3
	v_fmac_f16_e32 v2, -0.5, v15
	v_add_f16_e32 v15, v4, v14
	v_add_f16_e64 v135, v0, v4
	v_sub_f16_e32 v3, v3, v13
	v_sub_f16_e32 v4, v4, v14
	s_delay_alu instid0(VALU_DEP_4) | instskip(SKIP_1) | instid1(VALU_DEP_3)
	v_fmac_f16_e32 v0, -0.5, v15
	v_add_f16_e32 v15, v63, v13
	v_fmamk_f16 v13, v4, 0x3aee, v2
	v_fmac_f16_e32 v2, 0xbaee, v4
	v_add_f16_e64 v4, v135, v14
	v_fmamk_f16 v14, v3, 0xbaee, v0
	v_fmac_f16_e32 v0, 0x3aee, v3
	s_delay_alu instid0(VALU_DEP_3) | instskip(NEXT) | instid1(VALU_DEP_3)
	v_add_f16_e32 v63, v16, v4
	v_mul_f16_e32 v3, 0x3aee, v14
	v_sub_f16_e32 v4, v16, v4
	s_delay_alu instid0(VALU_DEP_2) | instskip(SKIP_1) | instid1(VALU_DEP_1)
	v_fmac_f16_e32 v3, 0.5, v13
	v_mul_f16_e32 v13, 0xbaee, v13
	v_fmac_f16_e32 v13, 0.5, v14
	v_mul_f16_e32 v14, -0.5, v2
	s_delay_alu instid0(VALU_DEP_2) | instskip(NEXT) | instid1(VALU_DEP_2)
	v_add_f16_e32 v16, v61, v13
	v_fmac_f16_e32 v14, 0x3aee, v0
	v_mul_f16_e32 v0, -0.5, v0
	v_sub_f16_e32 v13, v61, v13
	s_delay_alu instid0(VALU_DEP_2)
	v_fmac_f16_e32 v0, 0xbaee, v2
	v_add_f16_e32 v2, v58, v15
	v_sub_f16_e32 v15, v58, v15
	v_add_f16_e32 v58, v59, v3
	v_sub_f16_e32 v3, v59, v3
	;; [unrolled: 2-line block ×4, first 2 shown]
	v_pack_b32_f16 v16, v58, v16
	v_pack_b32_f16 v15, v15, v4
	;; [unrolled: 1-line block ×5, first 2 shown]
	v_add_f16_e32 v0, v17, v19
	v_pack_b32_f16 v60, v2, v63
	v_lshrrev_b32_e32 v81, 16, v190
	v_add_f16_e64 v19, v19, v191
	s_delay_alu instid0(VALU_DEP_4) | instskip(SKIP_1) | instid1(VALU_DEP_3)
	v_add_f16_e64 v149, v0, v191
	v_add_f16_e64 v0, v148, v110
	v_fmac_f16_e32 v17, -0.5, v19
	v_mul_f16_e64 v19, 0xbaee, v142
	s_delay_alu instid0(VALU_DEP_4) | instskip(NEXT) | instid1(VALU_DEP_2)
	v_add_f16_e64 v1, v149, v147
	v_fmac_f16_e64 v19, 0.5, v143
	s_delay_alu instid0(VALU_DEP_2)
	v_pack_b32_f16 v59, v0, v1
	ds_load_2addr_b32 v[0:1], v154 offset0:112 offset1:232
	ds_load_2addr_b32 v[2:3], v140 offset0:32 offset1:152
	;; [unrolled: 1-line block ×3, first 2 shown]
	ds_store_b32 v134, v16 offset:2400
	ds_store_b32 v134, v58 offset:4800
	;; [unrolled: 1-line block ×5, first 2 shown]
	ds_store_2addr_b32 v134, v60, v59 offset1:120
	s_clause 0x1
	global_load_b32 v236, v[56:57], off offset:7176
	global_load_b128 v[60:63], v[56:57], off offset:7160
	v_lshrrev_b32_e32 v13, 16, v237
	v_lshrrev_b32_e32 v16, 16, v176
	s_wait_dscnt 0x6
	v_lshrrev_b32_e32 v123, 16, v5
	s_wait_loadcnt 0x0
	v_lshrrev_b32_e32 v200, 16, v60
	v_lshrrev_b32_e32 v197, 16, v62
	s_delay_alu instid0(VALU_DEP_2) | instskip(SKIP_1) | instid1(VALU_DEP_3)
	v_mul_f16_e64 v14, v13, v200
	v_mul_f16_e64 v15, v237, v200
	;; [unrolled: 1-line block ×4, first 2 shown]
	s_delay_alu instid0(VALU_DEP_4) | instskip(SKIP_1) | instid1(VALU_DEP_4)
	v_fma_f16 v14, v237, v60, -v14
	v_lshrrev_b32_e32 v237, 16, v236
	v_fma_f16 v111, v176, v62, -v58
	v_fmac_f16_e32 v15, v13, v60
	v_fmac_f16_e32 v112, v16, v62
	v_lshrrev_b32_e32 v13, 16, v2
	v_mul_f16_e64 v58, v79, v237
	v_add_f16_e64 v129, v14, v111
	s_delay_alu instid0(VALU_DEP_4) | instskip(NEXT) | instid1(VALU_DEP_3)
	v_add_f16_e64 v130, v15, v112
	v_fma_f16 v113, v86, v236, -v58
	s_clause 0x1
	global_load_b32 v175, v[56:57], off offset:9576
	global_load_b128 v[56:59], v[56:57], off offset:9560
	v_mul_f16_e64 v86, v86, v237
	s_delay_alu instid0(VALU_DEP_1) | instskip(SKIP_1) | instid1(VALU_DEP_1)
	v_fmac_f16_e64 v86, v79, v236
	v_lshrrev_b32_e32 v79, 16, v61
	v_mul_f16_e32 v16, v2, v79
	s_delay_alu instid0(VALU_DEP_1) | instskip(SKIP_1) | instid1(VALU_DEP_1)
	v_fmac_f16_e32 v16, v13, v61
	v_mul_f16_e32 v13, v13, v79
	v_fma_f16 v2, v2, v61, -v13
	v_lshrrev_b32_e32 v13, 16, v3
	s_wait_loadcnt 0x0
	v_lshrrev_b32_e32 v255, 16, v56
	s_delay_alu instid0(VALU_DEP_1) | instskip(NEXT) | instid1(VALU_DEP_1)
	v_mul_f16_e64 v126, v81, v255
	v_fma_f16 v150, v190, v56, -v126
	v_mul_f16_e64 v190, v190, v255
	v_lshrrev_b32_e32 v126, 16, v57
	s_delay_alu instid0(VALU_DEP_2) | instskip(NEXT) | instid1(VALU_DEP_2)
	v_fmac_f16_e64 v190, v81, v56
	v_mul_f16_e32 v81, v13, v126
	s_delay_alu instid0(VALU_DEP_1) | instskip(SKIP_2) | instid1(VALU_DEP_2)
	v_fma_f16 v116, v3, v57, -v81
	v_lshrrev_b32_e32 v81, 16, v58
	v_mul_f16_e32 v3, v3, v126
	v_mul_f16_e64 v135, v117, v81
	v_mul_f16_e32 v119, v82, v81
	s_delay_alu instid0(VALU_DEP_3)
	v_fmac_f16_e32 v3, v13, v57
	v_sub_f16_e32 v13, v18, v83
	v_mul_f16_e64 v18, 0x3aee, v143
	v_fma_f16 v118, v82, v58, -v135
	v_lshrrev_b32_e32 v82, 16, v63
	v_lshrrev_b32_e32 v135, 16, v4
	v_fmac_f16_e32 v119, v117, v58
	v_fmac_f16_e64 v18, 0.5, v142
	v_add_f16_e64 v143, v150, v118
	v_mul_f16_e32 v122, v4, v82
	v_sub_f16_e64 v83, v148, v110
	v_sub_f16_e64 v110, v149, v147
	v_add_f16_e64 v136, v201, v18
	s_delay_alu instid0(VALU_DEP_4) | instskip(SKIP_1) | instid1(VALU_DEP_4)
	v_fmac_f16_e64 v122, v135, v63
	v_mul_f16_e64 v135, v135, v82
	v_pack_b32_f16 v83, v83, v110
	s_delay_alu instid0(VALU_DEP_3) | instskip(NEXT) | instid1(VALU_DEP_3)
	v_add_f16_e64 v191, v16, v122
	v_fma_f16 v4, v4, v63, -v135
	v_lshrrev_b32_e32 v135, 16, v59
	s_delay_alu instid0(VALU_DEP_2) | instskip(NEXT) | instid1(VALU_DEP_2)
	v_add_f16_e64 v148, v2, v4
	v_mul_f16_e64 v176, v123, v135
	s_delay_alu instid0(VALU_DEP_2) | instskip(NEXT) | instid1(VALU_DEP_2)
	v_fma_f16 v148, -0.5, v148, v0
	v_fma_f16 v124, v5, v59, -v176
	v_lshrrev_b32_e32 v176, 16, v175
	v_mul_f16_e64 v5, v5, v135
	s_delay_alu instid0(VALU_DEP_3) | instskip(NEXT) | instid1(VALU_DEP_3)
	v_add_f16_e32 v117, v116, v124
	v_mul_f16_e64 v65, v127, v176
	s_delay_alu instid0(VALU_DEP_3) | instskip(SKIP_1) | instid1(VALU_DEP_3)
	v_fmac_f16_e32 v5, v123, v59
	v_lshrrev_b32_e32 v123, 16, v1
	v_fma_f16 v65, v84, v175, -v65
	v_mul_f16_e64 v84, v84, v176
	s_delay_alu instid0(VALU_DEP_1) | instskip(SKIP_3) | instid1(VALU_DEP_1)
	v_fmac_f16_e64 v84, v127, v175
	v_add_f16_e32 v127, v1, v116
	v_fmac_f16_e32 v1, -0.5, v117
	v_sub_f16_e32 v117, v3, v5
	v_fma_f16 v142, 0x3aee, v117, v1
	v_fmac_f16_e32 v1, 0xbaee, v117
	v_add_f16_e32 v117, v118, v65
	s_delay_alu instid0(VALU_DEP_1) | instskip(SKIP_1) | instid1(VALU_DEP_1)
	v_fmac_f16_e64 v150, -0.5, v117
	v_sub_f16_e32 v117, v119, v84
	v_fma_f16 v147, 0x3aee, v117, v150
	v_fmac_f16_e64 v150, 0xbaee, v117
	v_add_f16_e32 v117, v119, v84
	v_add_f16_e64 v119, v190, v119
	s_delay_alu instid0(VALU_DEP_2) | instskip(SKIP_1) | instid1(VALU_DEP_1)
	v_fmac_f16_e64 v190, -0.5, v117
	v_sub_f16_e32 v117, v118, v65
	v_fma_f16 v118, 0xbaee, v117, v190
	v_fmac_f16_e64 v190, 0x3aee, v117
	v_mul_f16_e64 v117, -0.5, v150
	s_delay_alu instid0(VALU_DEP_1) | instskip(NEXT) | instid1(VALU_DEP_1)
	v_fmac_f16_e64 v117, 0x3aee, v190
	v_add_f16_e64 v149, v1, v117
	v_sub_f16_e32 v1, v1, v117
	v_lshrrev_b32_e32 v117, 16, v0
	v_add_f16_e32 v0, v0, v2
	v_sub_f16_e32 v2, v2, v4
	s_delay_alu instid0(VALU_DEP_3)
	v_add_f16_e64 v128, v117, v16
	v_fmac_f16_e64 v117, -0.5, v191
	v_add_f16_e64 v191, v111, v113
	v_sub_f16_e32 v111, v111, v113
	v_sub_f16_e32 v16, v16, v122
	v_add_f16_e32 v0, v0, v4
	v_fmamk_f16 v110, v2, 0xbaee, v117
	v_fmac_f16_e64 v14, -0.5, v191
	v_add_f16_e64 v191, v112, v86
	v_sub_f16_e32 v112, v112, v86
	v_fmac_f16_e32 v117, 0x3aee, v2
	v_add_f16_e64 v4, v129, v113
	s_delay_alu instid0(VALU_DEP_4) | instskip(NEXT) | instid1(VALU_DEP_4)
	v_fmac_f16_e64 v15, -0.5, v191
	v_fma_f16 v131, 0x3aee, v112, v14
	v_fmac_f16_e32 v14, 0xbaee, v112
	s_delay_alu instid0(VALU_DEP_3) | instskip(SKIP_1) | instid1(VALU_DEP_3)
	v_fma_f16 v191, 0xbaee, v111, v15
	v_fmac_f16_e32 v15, 0x3aee, v111
	v_mul_f16_e32 v2, -0.5, v14
	v_add_nc_u32_e32 v111, 0x1400, v134
	s_delay_alu instid0(VALU_DEP_4) | instskip(NEXT) | instid1(VALU_DEP_3)
	v_mul_f16_e64 v132, 0x3aee, v191
	v_fmac_f16_e32 v2, 0x3aee, v15
	v_mul_f16_e32 v15, -0.5, v15
	s_delay_alu instid0(VALU_DEP_3) | instskip(SKIP_1) | instid1(VALU_DEP_3)
	v_fmac_f16_e64 v132, 0.5, v131
	v_mul_f16_e64 v131, 0xbaee, v131
	v_fmac_f16_e32 v15, 0xbaee, v14
	s_delay_alu instid0(VALU_DEP_2)
	v_fmac_f16_e64 v131, 0.5, v191
	v_fma_f16 v191, 0xbaee, v13, v17
	v_fmac_f16_e32 v17, 0x3aee, v13
	v_mul_f16_e32 v13, -0.5, v101
	v_add_nc_u32_e32 v101, 0x2600, v134
	v_add_f16_e64 v67, v110, v131
	v_add_f16_e64 v66, v191, v19
	s_delay_alu instid0(VALU_DEP_4) | instskip(NEXT) | instid1(VALU_DEP_2)
	v_fmac_f16_e32 v13, 0xbaee, v85
	v_pack_b32_f16 v66, v136, v66
	v_fma_f16 v136, 0x3aee, v16, v148
	v_fmac_f16_e64 v148, 0xbaee, v16
	s_delay_alu instid0(VALU_DEP_4) | instskip(SKIP_1) | instid1(VALU_DEP_4)
	v_add_f16_e32 v14, v17, v13
	v_sub_f16_e32 v13, v17, v13
	v_add_f16_e64 v137, v136, v132
	s_delay_alu instid0(VALU_DEP_4) | instskip(NEXT) | instid1(VALU_DEP_4)
	v_add_f16_e64 v16, v148, v2
	v_pack_b32_f16 v14, v144, v14
	v_sub_f16_e64 v2, v148, v2
	v_pack_b32_f16 v13, v109, v13
	v_pack_b32_f16 v67, v137, v67
	ds_store_b32 v134, v83 offset:7680
	ds_store_2addr_b32 v152, v66, v67 offset0:80 offset1:200
	v_add_f16_e32 v66, v117, v15
	s_delay_alu instid0(VALU_DEP_1)
	v_pack_b32_f16 v16, v16, v66
	ds_store_2addr_b32 v111, v14, v16 offset0:40 offset1:160
	v_sub_f16_e64 v14, v201, v18
	v_sub_f16_e64 v16, v191, v19
	;; [unrolled: 1-line block ×4, first 2 shown]
	v_add_nc_u32_e32 v201, 0x1e00, v134
	s_delay_alu instid0(VALU_DEP_4) | instskip(NEXT) | instid1(VALU_DEP_3)
	v_pack_b32_f16 v14, v14, v16
	v_pack_b32_f16 v16, v18, v19
	v_add_f16_e32 v18, v123, v3
	v_add_f16_e32 v3, v3, v5
	ds_store_2addr_b32 v101, v14, v16 offset0:88 offset1:208
	v_sub_f16_e32 v14, v117, v15
	v_fmac_f16_e32 v123, -0.5, v3
	v_sub_f16_e32 v3, v116, v124
	v_add_f16_e32 v16, v0, v4
	v_add_f16_e32 v18, v18, v5
	v_pack_b32_f16 v2, v2, v14
	v_add_f16_e64 v14, v143, v65
	v_fmamk_f16 v5, v3, 0xbaee, v123
	v_fmac_f16_e32 v123, 0x3aee, v3
	v_mul_f16_e64 v3, -0.5, v190
	ds_store_2addr_b32 v141, v13, v2 offset0:48 offset1:168
	v_add_f16_e64 v2, v128, v122
	v_add_f16_e64 v13, v130, v86
	v_add_f16_e32 v15, v119, v84
	v_fmac_f16_e64 v3, 0xbaee, v150
	v_sub_f16_e32 v0, v0, v4
	v_mov_b32_e32 v128, v68
	v_add_f16_e32 v17, v2, v13
	v_add_f16_e32 v65, v18, v15
	v_sub_f16_e32 v2, v2, v13
	v_add_f16_e32 v13, v123, v3
	v_sub_f16_e32 v3, v123, v3
	v_pack_b32_f16 v16, v16, v17
	v_add_f16_e32 v17, v127, v124
	v_pack_b32_f16 v0, v0, v2
	v_pack_b32_f16 v13, v149, v13
	;; [unrolled: 1-line block ×3, first 2 shown]
	s_delay_alu instid0(VALU_DEP_4) | instskip(SKIP_3) | instid1(VALU_DEP_4)
	v_add_f16_e32 v19, v17, v14
	v_sub_f16_e32 v4, v17, v14
	v_sub_f16_e32 v14, v18, v15
	;; [unrolled: 1-line block ×3, first 2 shown]
	v_pack_b32_f16 v19, v19, v65
	s_delay_alu instid0(VALU_DEP_3)
	v_pack_b32_f16 v2, v4, v14
	v_add_f16_e32 v14, v71, v73
	ds_store_2addr_b32 v154, v16, v19 offset0:112 offset1:232
	ds_store_b32 v134, v13 offset:6240
	ds_store_2addr_b32 v201, v0, v2 offset0:120 offset1:240
	v_mul_f16_e64 v2, 0xbaee, v147
	v_mul_f16_e32 v0, 0x3aee, v118
	s_delay_alu instid0(VALU_DEP_2) | instskip(NEXT) | instid1(VALU_DEP_2)
	v_fmac_f16_e32 v2, 0.5, v118
	v_fmac_f16_e64 v0, 0.5, v147
	s_delay_alu instid0(VALU_DEP_2) | instskip(SKIP_2) | instid1(VALU_DEP_4)
	v_add_f16_e32 v13, v5, v2
	v_sub_f16_e32 v2, v5, v2
	v_add_f16_e32 v5, v69, v71
	v_add_f16_e64 v4, v142, v0
	v_sub_f16_e64 v0, v142, v0
	v_fmac_f16_e32 v69, -0.5, v14
	v_add_f16_e32 v14, v77, v75
	v_add_f16_e32 v5, v5, v73
	v_pack_b32_f16 v4, v4, v13
	v_pack_b32_f16 v0, v0, v2
	s_delay_alu instid0(VALU_DEP_4) | instskip(NEXT) | instid1(VALU_DEP_4)
	v_add_f16_e32 v2, v14, v6
	v_add_f16_e32 v3, v5, v7
	s_delay_alu instid0(VALU_DEP_1) | instskip(SKIP_2) | instid1(VALU_DEP_2)
	v_pack_b32_f16 v2, v2, v3
	v_fmamk_f16 v3, v15, 0xbaee, v69
	v_fmac_f16_e32 v69, 0x3aee, v15
	v_add_f16_e32 v13, v3, v8
	v_sub_f16_e32 v3, v3, v8
	s_delay_alu instid0(VALU_DEP_2)
	v_pack_b32_f16 v10, v10, v13
	ds_store_b32 v134, v1 offset:13440
	ds_store_b32 v134, v0 offset:11040
	;; [unrolled: 1-line block ×3, first 2 shown]
	ds_store_2addr_b32 v153, v4, v10 offset0:64 offset1:184
	v_mul_f16_e32 v0, -0.5, v74
	v_sub_f16_e32 v4, v5, v7
	v_sub_f16_e32 v1, v14, v6
	v_sub_f16_e32 v2, v70, v9
	s_delay_alu instid0(VALU_DEP_4) | instskip(NEXT) | instid1(VALU_DEP_3)
	v_fmac_f16_e32 v0, 0xbaee, v76
	v_pack_b32_f16 v1, v1, v4
	s_delay_alu instid0(VALU_DEP_3) | instskip(NEXT) | instid1(VALU_DEP_3)
	v_pack_b32_f16 v2, v2, v3
	v_add_f16_e32 v5, v69, v0
	v_sub_f16_e32 v0, v69, v0
	s_delay_alu instid0(VALU_DEP_2) | instskip(NEXT) | instid1(VALU_DEP_2)
	v_pack_b32_f16 v5, v11, v5
	v_pack_b32_f16 v0, v12, v0
	ds_store_b32 v134, v5 offset:6720
	ds_store_b32 v134, v1 offset:9120
	;; [unrolled: 1-line block ×4, first 2 shown]
	global_wb scope:SCOPE_SE
	s_wait_dscnt 0x0
	s_barrier_signal -1
	s_barrier_wait -1
	global_inv scope:SCOPE_SE
	s_clause 0x1
	global_load_b32 v2, v134, s[4:5] offset:14400
	global_load_b32 v8, v134, s[2:3] offset:13920
	ds_load_2addr_b32 v[0:1], v134 offset1:120
	s_wait_dscnt 0x0
	v_lshrrev_b32_e32 v4, 16, v0
	s_wait_loadcnt 0x1
	v_lshrrev_b32_e32 v3, 16, v2
	s_delay_alu instid0(VALU_DEP_1) | instskip(NEXT) | instid1(VALU_DEP_3)
	v_mul_f16_e32 v5, v0, v3
	v_mul_f16_e32 v3, v4, v3
	s_delay_alu instid0(VALU_DEP_2) | instskip(NEXT) | instid1(VALU_DEP_2)
	v_fmac_f16_e32 v5, v4, v2
	v_fma_f16 v0, v0, v2, -v3
	s_delay_alu instid0(VALU_DEP_1)
	v_pack_b32_f16 v0, v0, v5
	ds_store_b32 v134, v0
	s_clause 0x6
	global_load_b32 v0, v134, s[2:3] offset:1440
	global_load_b32 v5, v134, s[2:3] offset:1920
	;; [unrolled: 1-line block ×7, first 2 shown]
	ds_load_2addr_b32 v[2:3], v154 offset0:112 offset1:232
	s_wait_dscnt 0x0
	v_lshrrev_b32_e32 v6, 16, v3
	s_wait_loadcnt 0x6
	v_lshrrev_b32_e32 v4, 16, v0
	s_delay_alu instid0(VALU_DEP_1) | instskip(NEXT) | instid1(VALU_DEP_3)
	v_mul_f16_e32 v7, v3, v4
	v_mul_f16_e32 v4, v6, v4
	s_delay_alu instid0(VALU_DEP_2) | instskip(NEXT) | instid1(VALU_DEP_2)
	v_fmac_f16_e32 v7, v6, v0
	v_fma_f16 v0, v3, v0, -v4
	ds_load_2addr_b32 v[3:4], v115 offset0:96 offset1:216
	s_wait_loadcnt 0x5
	v_lshrrev_b32_e32 v6, 16, v5
	v_pack_b32_f16 v0, v0, v7
	s_wait_dscnt 0x0
	v_lshrrev_b32_e32 v14, 16, v3
	s_delay_alu instid0(VALU_DEP_3) | instskip(NEXT) | instid1(VALU_DEP_2)
	v_mul_f16_e32 v15, v3, v6
	v_mul_f16_e32 v6, v14, v6
	s_delay_alu instid0(VALU_DEP_2) | instskip(NEXT) | instid1(VALU_DEP_2)
	v_fmac_f16_e32 v15, v14, v5
	v_fma_f16 v3, v3, v5, -v6
	v_add_nc_u32_e32 v5, 0x400, v134
	s_delay_alu instid0(VALU_DEP_2)
	v_pack_b32_f16 v3, v3, v15
	ds_store_2addr_b32 v5, v0, v3 offset0:104 offset1:224
	s_clause 0x2
	global_load_b32 v0, v134, s[2:3] offset:4320
	global_load_b32 v3, v134, s[2:3] offset:4800
	;; [unrolled: 1-line block ×3, first 2 shown]
	ds_load_2addr_b32 v[5:6], v153 offset0:64 offset1:184
	s_wait_dscnt 0x0
	v_lshrrev_b32_e32 v15, 16, v6
	s_wait_loadcnt 0x2
	v_lshrrev_b32_e32 v7, 16, v0
	s_delay_alu instid0(VALU_DEP_1) | instskip(NEXT) | instid1(VALU_DEP_3)
	v_mul_f16_e32 v16, v6, v7
	v_mul_f16_e32 v7, v15, v7
	s_delay_alu instid0(VALU_DEP_2) | instskip(NEXT) | instid1(VALU_DEP_2)
	v_fmac_f16_e32 v16, v15, v0
	v_fma_f16 v0, v6, v0, -v7
	ds_load_2addr_b32 v[6:7], v114 offset0:48 offset1:168
	s_wait_loadcnt 0x1
	v_lshrrev_b32_e32 v15, 16, v3
	v_pack_b32_f16 v0, v0, v16
	s_wait_dscnt 0x0
	v_lshrrev_b32_e32 v17, 16, v6
	s_delay_alu instid0(VALU_DEP_3) | instskip(NEXT) | instid1(VALU_DEP_2)
	v_mul_f16_e32 v18, v6, v15
	v_mul_f16_e32 v15, v17, v15
	s_delay_alu instid0(VALU_DEP_2) | instskip(NEXT) | instid1(VALU_DEP_2)
	v_fmac_f16_e32 v18, v17, v3
	v_fma_f16 v3, v6, v3, -v15
	v_add_nc_u32_e32 v6, 0x1000, v134
	s_delay_alu instid0(VALU_DEP_2)
	v_pack_b32_f16 v3, v3, v18
	ds_store_2addr_b32 v6, v0, v3 offset0:56 offset1:176
	s_clause 0x2
	global_load_b32 v0, v134, s[2:3] offset:12960
	global_load_b32 v3, v134, s[2:3] offset:13440
	;; [unrolled: 1-line block ×3, first 2 shown]
	ds_load_2addr_b32 v[69:70], v141 offset0:48 offset1:168
	s_wait_dscnt 0x0
	v_lshrrev_b32_e32 v16, 16, v70
	s_wait_loadcnt 0x2
	v_lshrrev_b32_e32 v15, 16, v0
	s_delay_alu instid0(VALU_DEP_1) | instskip(NEXT) | instid1(VALU_DEP_3)
	v_mul_f16_e32 v17, v70, v15
	v_mul_f16_e32 v15, v16, v15
	s_delay_alu instid0(VALU_DEP_2) | instskip(NEXT) | instid1(VALU_DEP_2)
	v_fmac_f16_e32 v17, v16, v0
	v_fma_f16 v0, v70, v0, -v15
	ds_load_2addr_b32 v[70:71], v68 offset0:32 offset1:152
	s_wait_loadcnt 0x1
	v_lshrrev_b32_e32 v15, 16, v3
	v_pack_b32_f16 v0, v0, v17
	s_wait_dscnt 0x0
	v_lshrrev_b32_e32 v16, 16, v70
	s_delay_alu instid0(VALU_DEP_3) | instskip(NEXT) | instid1(VALU_DEP_2)
	v_mul_f16_e32 v18, v70, v15
	v_mul_f16_e32 v15, v16, v15
	s_delay_alu instid0(VALU_DEP_2) | instskip(NEXT) | instid1(VALU_DEP_2)
	v_fmac_f16_e32 v18, v16, v3
	v_fma_f16 v3, v70, v3, -v15
	v_add_nc_u32_e32 v15, 0x3200, v134
	s_delay_alu instid0(VALU_DEP_2) | instskip(SKIP_3) | instid1(VALU_DEP_1)
	v_pack_b32_f16 v3, v3, v18
	ds_store_2addr_b32 v15, v0, v3 offset0:40 offset1:160
	v_lshrrev_b32_e32 v0, 16, v4
	v_lshrrev_b32_e32 v3, 16, v9
	v_mul_f16_e32 v15, v0, v3
	v_mul_f16_e32 v16, v4, v3
	s_delay_alu instid0(VALU_DEP_2)
	v_fma_f16 v15, v4, v9, -v15
	ds_load_2addr_b32 v[3:4], v152 offset0:80 offset1:200
	v_fmac_f16_e32 v16, v0, v9
	v_lshrrev_b32_e32 v0, 16, v10
	s_wait_dscnt 0x0
	v_lshrrev_b32_e32 v9, 16, v3
	s_delay_alu instid0(VALU_DEP_2) | instskip(NEXT) | instid1(VALU_DEP_2)
	v_mul_f16_e32 v17, v3, v0
	v_mul_f16_e32 v0, v9, v0
	s_delay_alu instid0(VALU_DEP_2) | instskip(SKIP_1) | instid1(VALU_DEP_3)
	v_fmac_f16_e32 v17, v9, v10
	v_add_nc_u32_e32 v9, 0x800, v134
	v_fma_f16 v0, v3, v10, -v0
	v_pack_b32_f16 v3, v15, v16
	s_delay_alu instid0(VALU_DEP_2) | instskip(SKIP_3) | instid1(VALU_DEP_1)
	v_pack_b32_f16 v0, v0, v17
	ds_store_2addr_b32 v9, v3, v0 offset0:88 offset1:208
	v_lshrrev_b32_e32 v0, 16, v4
	v_lshrrev_b32_e32 v3, 16, v11
	v_mul_f16_e32 v9, v0, v3
	v_mul_f16_e32 v3, v4, v3
	s_delay_alu instid0(VALU_DEP_2) | instskip(NEXT) | instid1(VALU_DEP_2)
	v_fma_f16 v4, v4, v11, -v9
	v_fmac_f16_e32 v3, v0, v11
	v_lshrrev_b32_e32 v0, 16, v5
	v_lshrrev_b32_e32 v9, 16, v12
	s_delay_alu instid0(VALU_DEP_1) | instskip(SKIP_1) | instid1(VALU_DEP_2)
	v_mul_f16_e32 v10, v0, v9
	v_mul_f16_e32 v9, v5, v9
	v_fma_f16 v5, v5, v12, -v10
	s_delay_alu instid0(VALU_DEP_2) | instskip(SKIP_2) | instid1(VALU_DEP_3)
	v_fmac_f16_e32 v9, v0, v12
	v_pack_b32_f16 v0, v4, v3
	v_add_nc_u32_e32 v4, 0xc00, v134
	v_pack_b32_f16 v3, v5, v9
	ds_store_2addr_b32 v4, v0, v3 offset0:72 offset1:192
	s_clause 0x4
	global_load_b32 v0, v134, s[2:3] offset:6240
	global_load_b32 v9, v134, s[2:3] offset:6720
	;; [unrolled: 1-line block ×5, first 2 shown]
	ds_load_2addr_b32 v[3:4], v140 offset0:32 offset1:152
	s_wait_dscnt 0x0
	v_lshrrev_b32_e32 v15, 16, v4
	s_wait_loadcnt 0x4
	v_lshrrev_b32_e32 v5, 16, v0
	s_delay_alu instid0(VALU_DEP_1) | instskip(NEXT) | instid1(VALU_DEP_3)
	v_mul_f16_e32 v16, v4, v5
	v_mul_f16_e32 v5, v15, v5
	s_delay_alu instid0(VALU_DEP_2) | instskip(NEXT) | instid1(VALU_DEP_2)
	v_fmac_f16_e32 v16, v15, v0
	v_fma_f16 v0, v4, v0, -v5
	ds_load_2addr_b32 v[4:5], v120 offset0:16 offset1:136
	s_wait_loadcnt 0x3
	v_lshrrev_b32_e32 v15, 16, v9
	v_pack_b32_f16 v0, v0, v16
	s_wait_dscnt 0x0
	v_lshrrev_b32_e32 v17, 16, v4
	s_delay_alu instid0(VALU_DEP_3) | instskip(NEXT) | instid1(VALU_DEP_2)
	v_mul_f16_e32 v18, v4, v15
	v_mul_f16_e32 v15, v17, v15
	s_delay_alu instid0(VALU_DEP_2) | instskip(NEXT) | instid1(VALU_DEP_2)
	v_fmac_f16_e32 v18, v17, v9
	v_fma_f16 v4, v4, v9, -v15
	v_add_nc_u32_e32 v9, 0x1800, v134
	s_delay_alu instid0(VALU_DEP_2)
	v_pack_b32_f16 v4, v4, v18
	ds_store_2addr_b32 v9, v0, v4 offset0:24 offset1:144
	s_clause 0x4
	global_load_b32 v0, v134, s[2:3] offset:9120
	global_load_b32 v4, v134, s[2:3] offset:9600
	;; [unrolled: 1-line block ×5, first 2 shown]
	ds_load_2addr_b32 v[65:66], v139 offset0:112 offset1:232
	ds_load_2addr_b32 v[72:73], v133 offset0:96 offset1:216
	s_wait_dscnt 0x1
	v_lshrrev_b32_e32 v18, 16, v66
	s_wait_loadcnt 0x4
	v_lshrrev_b32_e32 v17, 16, v0
	s_delay_alu instid0(VALU_DEP_1) | instskip(NEXT) | instid1(VALU_DEP_3)
	v_mul_f16_e32 v19, v66, v17
	v_mul_f16_e32 v17, v18, v17
	s_delay_alu instid0(VALU_DEP_2) | instskip(NEXT) | instid1(VALU_DEP_2)
	v_fmac_f16_e32 v19, v18, v0
	v_fma_f16 v0, v66, v0, -v17
	s_wait_loadcnt 0x3
	v_lshrrev_b32_e32 v17, 16, v4
	s_wait_dscnt 0x0
	v_lshrrev_b32_e32 v18, 16, v72
	v_pack_b32_f16 v0, v0, v19
	s_delay_alu instid0(VALU_DEP_3) | instskip(NEXT) | instid1(VALU_DEP_3)
	v_mul_f16_e32 v66, v72, v17
	v_mul_f16_e32 v17, v18, v17
	s_delay_alu instid0(VALU_DEP_2) | instskip(NEXT) | instid1(VALU_DEP_2)
	v_fmac_f16_e32 v66, v18, v4
	v_fma_f16 v4, v72, v4, -v17
	v_add_nc_u32_e32 v17, 0x2200, v134
	s_delay_alu instid0(VALU_DEP_2)
	v_pack_b32_f16 v4, v4, v66
	ds_store_2addr_b32 v17, v0, v4 offset0:104 offset1:224
	s_clause 0x1
	global_load_b32 v0, v134, s[2:3] offset:11520
	global_load_b32 v4, v134, s[2:3] offset:11040
	ds_load_2addr_b32 v[66:67], v145 offset0:64 offset1:184
	ds_load_2addr_b32 v[74:75], v107 offset0:80 offset1:200
	s_wait_dscnt 0x1
	v_lshrrev_b32_e32 v18, 16, v66
	s_wait_loadcnt 0x1
	v_lshrrev_b32_e32 v17, 16, v0
	s_delay_alu instid0(VALU_DEP_1) | instskip(NEXT) | instid1(VALU_DEP_3)
	v_mul_f16_e32 v19, v66, v17
	v_mul_f16_e32 v17, v18, v17
	s_delay_alu instid0(VALU_DEP_2) | instskip(NEXT) | instid1(VALU_DEP_2)
	v_fmac_f16_e32 v19, v18, v0
	v_fma_f16 v0, v66, v0, -v17
	s_wait_loadcnt 0x0
	v_lshrrev_b32_e32 v17, 16, v4
	s_wait_dscnt 0x0
	v_lshrrev_b32_e32 v18, 16, v75
	v_pack_b32_f16 v0, v0, v19
	s_delay_alu instid0(VALU_DEP_3) | instskip(NEXT) | instid1(VALU_DEP_3)
	v_mul_f16_e32 v66, v75, v17
	v_mul_f16_e32 v17, v18, v17
	s_delay_alu instid0(VALU_DEP_2) | instskip(NEXT) | instid1(VALU_DEP_2)
	v_fmac_f16_e32 v66, v18, v4
	v_fma_f16 v4, v75, v4, -v17
	v_add_nc_u32_e32 v17, 0x2a00, v134
	s_delay_alu instid0(VALU_DEP_2)
	v_pack_b32_f16 v4, v4, v66
	ds_store_2addr_b32 v17, v4, v0 offset0:72 offset1:192
	global_load_b32 v0, v134, s[2:3] offset:12000
	v_lshrrev_b32_e32 v4, 16, v67
	s_wait_loadcnt 0x0
	v_lshrrev_b32_e32 v17, 16, v0
	s_delay_alu instid0(VALU_DEP_1) | instskip(SKIP_1) | instid1(VALU_DEP_2)
	v_mul_f16_e32 v18, v4, v17
	v_mul_f16_e32 v17, v67, v17
	v_fma_f16 v18, v67, v0, -v18
	s_delay_alu instid0(VALU_DEP_2) | instskip(SKIP_2) | instid1(VALU_DEP_1)
	v_fmac_f16_e32 v17, v4, v0
	v_lshrrev_b32_e32 v0, 16, v69
	v_lshrrev_b32_e32 v4, 16, v6
	v_mul_f16_e32 v19, v0, v4
	v_mul_f16_e32 v4, v69, v4
	s_delay_alu instid0(VALU_DEP_2) | instskip(NEXT) | instid1(VALU_DEP_2)
	v_fma_f16 v19, v69, v6, -v19
	v_fmac_f16_e32 v4, v0, v6
	v_pack_b32_f16 v0, v18, v17
	v_add_nc_u32_e32 v6, 0x2e00, v134
	s_delay_alu instid0(VALU_DEP_3) | instskip(SKIP_3) | instid1(VALU_DEP_1)
	v_pack_b32_f16 v4, v19, v4
	ds_store_2addr_b32 v6, v0, v4 offset0:56 offset1:176
	v_lshrrev_b32_e32 v0, 16, v3
	v_lshrrev_b32_e32 v4, 16, v12
	v_mul_f16_e32 v6, v0, v4
	v_mul_f16_e32 v4, v3, v4
	s_delay_alu instid0(VALU_DEP_2) | instskip(NEXT) | instid1(VALU_DEP_2)
	v_fma_f16 v3, v3, v12, -v6
	v_fmac_f16_e32 v4, v0, v12
	v_lshrrev_b32_e32 v0, 16, v5
	v_lshrrev_b32_e32 v6, 16, v10
	s_delay_alu instid0(VALU_DEP_1) | instskip(SKIP_1) | instid1(VALU_DEP_2)
	v_mul_f16_e32 v12, v0, v6
	v_mul_f16_e32 v6, v5, v6
	v_fma_f16 v5, v5, v10, -v12
	s_delay_alu instid0(VALU_DEP_2)
	v_fmac_f16_e32 v6, v0, v10
	v_lshrrev_b32_e32 v0, 16, v65
	v_lshrrev_b32_e32 v12, 16, v16
	global_load_b32 v10, v134, s[2:3] offset:8160
	v_pack_b32_f16 v5, v5, v6
	v_mul_f16_e32 v17, v0, v12
	v_mul_f16_e32 v12, v65, v12
	s_delay_alu instid0(VALU_DEP_2) | instskip(NEXT) | instid1(VALU_DEP_2)
	v_fma_f16 v17, v65, v16, -v17
	v_fmac_f16_e32 v12, v0, v16
	v_lshrrev_b32_e32 v0, 16, v73
	v_lshrrev_b32_e32 v16, 16, v9
	s_delay_alu instid0(VALU_DEP_1) | instskip(SKIP_1) | instid1(VALU_DEP_2)
	v_mul_f16_e32 v18, v0, v16
	v_mul_f16_e32 v16, v73, v16
	v_fma_f16 v18, v73, v9, -v18
	s_delay_alu instid0(VALU_DEP_2) | instskip(SKIP_4) | instid1(VALU_DEP_1)
	v_fmac_f16_e32 v16, v0, v9
	global_load_b32 v0, v134, s[2:3] offset:480
	v_lshrrev_b32_e32 v9, 16, v1
	s_wait_loadcnt 0x0
	v_lshrrev_b32_e32 v19, 16, v0
	v_mul_f16_e32 v65, v9, v19
	v_mul_f16_e32 v19, v1, v19
	s_delay_alu instid0(VALU_DEP_2) | instskip(SKIP_1) | instid1(VALU_DEP_3)
	v_fma_f16 v65, v1, v0, -v65
	v_lshrrev_b32_e32 v1, 16, v15
	v_fmac_f16_e32 v19, v9, v0
	v_lshrrev_b32_e32 v0, 16, v74
	s_delay_alu instid0(VALU_DEP_3) | instskip(NEXT) | instid1(VALU_DEP_2)
	v_mul_f16_e32 v66, v74, v1
	v_mul_f16_e32 v9, v0, v1
	s_delay_alu instid0(VALU_DEP_2)
	v_fmac_f16_e32 v66, v0, v15
	ds_load_2addr_b32 v[0:1], v125 offset0:128 offset1:248
	v_fma_f16 v9, v74, v15, -v9
	v_lshrrev_b32_e32 v15, 16, v11
	s_wait_dscnt 0x0
	v_lshrrev_b32_e32 v67, 16, v0
	s_delay_alu instid0(VALU_DEP_2) | instskip(NEXT) | instid1(VALU_DEP_2)
	v_mul_f16_e32 v68, v0, v15
	v_mul_f16_e32 v15, v67, v15
	s_delay_alu instid0(VALU_DEP_2) | instskip(NEXT) | instid1(VALU_DEP_2)
	v_fmac_f16_e32 v68, v67, v11
	v_fma_f16 v0, v0, v11, -v15
	s_delay_alu instid0(VALU_DEP_1)
	v_pack_b32_f16 v0, v0, v68
	ds_store_2addr_b32 v125, v5, v0 offset0:8 offset1:128
	v_pack_b32_f16 v0, v18, v16
	v_pack_b32_f16 v5, v9, v66
	ds_store_2addr_b32 v101, v0, v5 offset0:88 offset1:208
	v_lshrrev_b32_e32 v0, 16, v2
	v_lshrrev_b32_e32 v5, 16, v13
	s_delay_alu instid0(VALU_DEP_1) | instskip(SKIP_1) | instid1(VALU_DEP_2)
	v_mul_f16_e32 v6, v0, v5
	v_mul_f16_e32 v5, v2, v5
	v_fma_f16 v2, v2, v13, -v6
	s_delay_alu instid0(VALU_DEP_2) | instskip(SKIP_2) | instid1(VALU_DEP_3)
	v_fmac_f16_e32 v5, v0, v13
	v_lshrrev_b32_e32 v0, 16, v7
	v_lshrrev_b32_e32 v6, 16, v14
	v_pack_b32_f16 v2, v2, v5
	s_delay_alu instid0(VALU_DEP_2) | instskip(SKIP_1) | instid1(VALU_DEP_2)
	v_mul_f16_e32 v9, v0, v6
	v_mul_f16_e32 v6, v7, v6
	v_fma_f16 v7, v7, v14, -v9
	s_delay_alu instid0(VALU_DEP_2)
	v_fmac_f16_e32 v6, v0, v14
	v_pack_b32_f16 v0, v65, v19
	ds_store_2addr_b32 v134, v0, v2 offset0:120 offset1:240
	v_pack_b32_f16 v0, v3, v4
	v_pack_b32_f16 v2, v7, v6
	ds_store_2addr_b32 v111, v2, v0 offset0:40 offset1:160
	v_lshrrev_b32_e32 v0, 16, v1
	v_lshrrev_b32_e32 v2, 16, v10
	s_delay_alu instid0(VALU_DEP_1) | instskip(SKIP_1) | instid1(VALU_DEP_2)
	v_mul_f16_e32 v3, v0, v2
	v_mul_f16_e32 v2, v1, v2
	v_fma_f16 v1, v1, v10, -v3
	s_delay_alu instid0(VALU_DEP_2) | instskip(SKIP_2) | instid1(VALU_DEP_3)
	v_fmac_f16_e32 v2, v0, v10
	v_lshrrev_b32_e32 v0, 16, v71
	v_lshrrev_b32_e32 v3, 16, v8
	v_pack_b32_f16 v1, v1, v2
	s_delay_alu instid0(VALU_DEP_2) | instskip(SKIP_1) | instid1(VALU_DEP_2)
	v_mul_f16_e32 v4, v0, v3
	v_mul_f16_e32 v3, v71, v3
	v_fma_f16 v4, v71, v8, -v4
	s_delay_alu instid0(VALU_DEP_2)
	v_fmac_f16_e32 v3, v0, v8
	v_pack_b32_f16 v0, v17, v12
	ds_store_2addr_b32 v201, v1, v0 offset0:120 offset1:240
	v_pack_b32_f16 v0, v4, v3
	ds_store_b32 v134, v0 offset:13920
	global_wb scope:SCOPE_SE
	s_wait_dscnt 0x0
	s_barrier_signal -1
	s_barrier_wait -1
	global_inv scope:SCOPE_SE
	ds_load_2addr_b32 v[67:68], v139 offset0:112 offset1:232
	ds_load_2addr_b32 v[65:66], v145 offset0:64 offset1:184
	;; [unrolled: 1-line block ×4, first 2 shown]
	ds_load_2addr_b32 v[16:17], v134 offset1:120
	ds_load_2addr_b32 v[71:72], v133 offset0:96 offset1:216
	ds_load_2addr_b32 v[69:70], v141 offset0:48 offset1:168
	;; [unrolled: 1-line block ×5, first 2 shown]
	s_wait_dscnt 0x9
	v_lshrrev_b32_e32 v2, 16, v67
	s_wait_dscnt 0x8
	v_sub_f16_e32 v0, v67, v65
	s_wait_dscnt 0x6
	v_sub_f16_e32 v1, v8, v10
	v_lshrrev_b32_e32 v5, 16, v10
	v_lshrrev_b32_e32 v6, 16, v65
	s_wait_dscnt 0x5
	v_lshrrev_b32_e32 v110, 16, v16
	v_sub_f16_e32 v18, v10, v65
	v_add_f16_e32 v0, v1, v0
	v_add_f16_e32 v1, v10, v65
	v_sub_f16_e32 v7, v5, v6
	v_sub_f16_e32 v12, v2, v6
	s_wait_dscnt 0x1
	v_sub_f16_e32 v14, v78, v76
	v_lshrrev_b32_e32 v19, 16, v78
	v_fma_f16 v109, -0.5, v1, v16
	v_lshrrev_b32_e32 v1, 16, v8
	v_lshrrev_b32_e32 v83, 16, v72
	;; [unrolled: 1-line block ×4, first 2 shown]
	s_wait_dscnt 0x0
	v_lshrrev_b32_e32 v116, 16, v74
	v_sub_f16_e32 v3, v1, v2
	v_sub_f16_e32 v85, v19, v83
	;; [unrolled: 1-line block ×4, first 2 shown]
	v_add_f16_e32 v117, v84, v86
	v_fmamk_f16 v4, v3, 0x3b9c, v109
	v_fmac_f16_e32 v109, 0xbb9c, v3
	v_sub_f16_e32 v118, v83, v86
	s_delay_alu instid0(VALU_DEP_3) | instskip(NEXT) | instid1(VALU_DEP_3)
	v_fmac_f16_e32 v4, 0xb8b4, v7
	v_fmac_f16_e32 v109, 0x38b4, v7
	s_delay_alu instid0(VALU_DEP_2) | instskip(NEXT) | instid1(VALU_DEP_2)
	v_fmac_f16_e32 v4, 0x34f2, v0
	v_fmac_f16_e32 v109, 0x34f2, v0
	v_add_f16_e32 v0, v1, v2
	v_sub_f16_e32 v2, v6, v2
	s_delay_alu instid0(VALU_DEP_2) | instskip(SKIP_2) | instid1(VALU_DEP_3)
	v_fma_f16 v112, -0.5, v0, v110
	v_add_f16_e32 v0, v5, v6
	v_sub_f16_e32 v6, v10, v8
	v_fmamk_f16 v127, v18, 0x3b9c, v112
	s_delay_alu instid0(VALU_DEP_3) | instskip(SKIP_4) | instid1(VALU_DEP_4)
	v_fmac_f16_e32 v110, -0.5, v0
	v_sub_f16_e32 v0, v1, v5
	v_sub_f16_e32 v1, v5, v1
	;; [unrolled: 1-line block ×3, first 2 shown]
	v_fmac_f16_e32 v112, 0xbb9c, v18
	v_add_f16_e32 v0, v0, v12
	v_sub_f16_e32 v12, v8, v67
	s_delay_alu instid0(VALU_DEP_4)
	v_add_f16_e32 v5, v6, v5
	v_add_f16_e32 v1, v1, v2
	v_sub_f16_e32 v2, v84, v19
	v_sub_f16_e32 v6, v86, v83
	v_fmamk_f16 v13, v12, 0xbb9c, v110
	v_fmac_f16_e32 v110, 0x3b9c, v12
	v_fmac_f16_e32 v127, 0x38b4, v12
	;; [unrolled: 1-line block ×3, first 2 shown]
	v_add_f16_e32 v2, v2, v6
	v_fmac_f16_e32 v13, 0x38b4, v18
	v_fmac_f16_e32 v110, 0xb8b4, v18
	v_add_f16_e32 v6, v78, v72
	v_fmac_f16_e32 v127, 0x34f2, v1
	v_fmac_f16_e32 v112, 0x34f2, v1
	;; [unrolled: 1-line block ×4, first 2 shown]
	v_sub_f16_e32 v0, v72, v70
	v_fma_f16 v6, -0.5, v6, v74
	v_pk_add_f16 v1, v74, v76
	s_delay_alu instid0(VALU_DEP_3) | instskip(SKIP_1) | instid1(VALU_DEP_3)
	v_add_f16_e32 v0, v14, v0
	v_add_f16_e32 v14, v76, v70
	v_pk_add_f16 v1, v1, v78
	s_delay_alu instid0(VALU_DEP_2) | instskip(NEXT) | instid1(VALU_DEP_2)
	v_fma_f16 v14, -0.5, v14, v74
	v_pk_add_f16 v1, v1, v72
	s_delay_alu instid0(VALU_DEP_2) | instskip(SKIP_1) | instid1(VALU_DEP_3)
	v_fmamk_f16 v15, v85, 0x3b9c, v14
	v_fmac_f16_e32 v14, 0xbb9c, v85
	v_pk_add_f16 v1, v1, v70
	s_delay_alu instid0(VALU_DEP_3) | instskip(NEXT) | instid1(VALU_DEP_3)
	v_fmac_f16_e32 v15, 0xb8b4, v113
	v_fmac_f16_e32 v14, 0x38b4, v113
	s_delay_alu instid0(VALU_DEP_2) | instskip(NEXT) | instid1(VALU_DEP_2)
	v_fmac_f16_e32 v15, 0x34f2, v0
	v_fmac_f16_e32 v14, 0x34f2, v0
	v_add_f16_e32 v0, v19, v83
	v_sub_f16_e32 v83, v76, v78
	s_delay_alu instid0(VALU_DEP_2)
	v_fma_f16 v0, -0.5, v0, v116
	v_fmac_f16_e32 v116, -0.5, v117
	v_sub_f16_e32 v117, v19, v84
	v_sub_f16_e32 v19, v70, v72
	v_fmamk_f16 v84, v113, 0xbb9c, v6
	v_fmac_f16_e32 v6, 0x3b9c, v113
	s_delay_alu instid0(VALU_DEP_4)
	v_add_f16_e32 v117, v117, v118
	v_sub_f16_e32 v118, v78, v72
	v_add_f16_e32 v19, v83, v19
	v_fmamk_f16 v83, v122, 0x3b9c, v0
	v_fmac_f16_e32 v84, 0xb8b4, v85
	v_fmac_f16_e32 v0, 0xbb9c, v122
	v_fmamk_f16 v119, v118, 0xbb9c, v116
	v_fmac_f16_e32 v116, 0x3b9c, v118
	v_fmac_f16_e32 v83, 0x38b4, v118
	;; [unrolled: 1-line block ×11, first 2 shown]
	v_mul_f16_e32 v86, 0xb8b4, v83
	v_fmac_f16_e32 v6, 0x34f2, v19
	v_mul_f16_e32 v113, 0xb8b4, v0
	v_mul_f16_e32 v123, 0xbb9c, v119
	v_mul_f16_e32 v117, 0xbb9c, v116
	v_mul_f16_e32 v116, 0xb4f2, v116
	v_mul_f16_e32 v119, 0x34f2, v119
	v_mul_f16_e32 v118, 0xba79, v0
	v_fmac_f16_e32 v123, 0x34f2, v15
	v_fmac_f16_e32 v117, 0xb4f2, v14
	;; [unrolled: 1-line block ×4, first 2 shown]
	v_pk_add_f16 v0, v16, v10
	v_fmac_f16_e32 v86, 0x3a79, v84
	v_add_f16_e32 v14, v109, v117
	v_add_f16_e32 v15, v110, v116
	;; [unrolled: 1-line block ×3, first 2 shown]
	v_sub_f16_e32 v13, v13, v119
	v_pk_add_f16 v0, v0, v8
	v_fmac_f16_e32 v113, 0xba79, v6
	v_pack_b32_f16 v15, v14, v15
	v_add_f16_e32 v14, v4, v123
	v_sub_f16_e32 v4, v4, v123
	v_pk_add_f16 v0, v0, v67
	v_fmac_f16_e32 v118, 0x38b4, v6
	v_sub_f16_e32 v10, v110, v116
	v_pack_b32_f16 v14, v14, v124
	v_mul_f16_e32 v124, 0x38b4, v84
	v_pack_b32_f16 v84, v4, v13
	v_pk_add_f16 v0, v0, v65
	v_sub_f16_e32 v65, v11, v9
	s_delay_alu instid0(VALU_DEP_4) | instskip(SKIP_1) | instid1(VALU_DEP_4)
	v_fmac_f16_e32 v124, 0x3a79, v83
	v_add_f16_e32 v83, v8, v67
	v_pk_add_f16 v85, v0, v1
	v_pk_add_f16 v1, v0, v1 neg_lo:[0,1] neg_hi:[0,1]
	v_sub_f16_e32 v8, v112, v118
	v_sub_f16_e32 v13, v127, v124
	v_fma_f16 v119, -0.5, v83, v16
	v_add_f16_e32 v2, v127, v124
	v_lshrrev_b32_e32 v16, 16, v9
	v_lshrrev_b32_e32 v67, 16, v11
	s_delay_alu instid0(VALU_DEP_4) | instskip(SKIP_1) | instid1(VALU_DEP_2)
	v_fmamk_f16 v123, v7, 0xbb9c, v119
	v_fmac_f16_e32 v119, 0x3b9c, v7
	v_fmac_f16_e32 v123, 0xb8b4, v3
	s_delay_alu instid0(VALU_DEP_2) | instskip(NEXT) | instid1(VALU_DEP_2)
	v_fmac_f16_e32 v119, 0x38b4, v3
	v_fmac_f16_e32 v123, 0x34f2, v5
	s_delay_alu instid0(VALU_DEP_2) | instskip(NEXT) | instid1(VALU_DEP_2)
	v_fmac_f16_e32 v119, 0x34f2, v5
	v_sub_f16_e32 v4, v123, v86
	s_delay_alu instid0(VALU_DEP_2) | instskip(NEXT) | instid1(VALU_DEP_2)
	v_add_f16_e32 v0, v119, v113
	v_pack_b32_f16 v83, v4, v13
	v_add_f16_e32 v4, v123, v86
	s_delay_alu instid0(VALU_DEP_1) | instskip(SKIP_1) | instid1(VALU_DEP_1)
	v_pack_b32_f16 v86, v4, v2
	v_add_f16_e32 v2, v112, v118
	v_pack_b32_f16 v0, v0, v2
	ds_load_2addr_b32 v[12:13], v115 offset0:96 offset1:216
	ds_load_2addr_b32 v[6:7], v114 offset0:48 offset1:168
	;; [unrolled: 1-line block ×5, first 2 shown]
	global_wb scope:SCOPE_SE
	s_wait_dscnt 0x0
	s_barrier_signal -1
	s_barrier_wait -1
	global_inv scope:SCOPE_SE
	ds_store_2addr_b64 v161, v[85:86], v[14:15] offset1:1
	ds_store_2addr_b64 v161, v[0:1], v[83:84] offset0:2 offset1:3
	v_sub_f16_e32 v0, v109, v117
	v_sub_f16_e32 v1, v119, v113
	;; [unrolled: 1-line block ×4, first 2 shown]
	s_delay_alu instid0(VALU_DEP_4) | instskip(NEXT) | instid1(VALU_DEP_4)
	v_pack_b32_f16 v0, v0, v10
	v_pack_b32_f16 v1, v1, v8
	v_lshrrev_b32_e32 v8, 16, v68
	v_sub_f16_e32 v10, v66, v68
	v_lshrrev_b32_e32 v113, 16, v12
	ds_store_b64 v161, v[0:1] offset:32
	v_pk_add_f16 v0, v17, v11
	v_add_f16_e32 v1, v9, v68
	v_lshrrev_b32_e32 v83, 16, v4
	v_lshrrev_b32_e32 v84, 16, v2
	;; [unrolled: 1-line block ×3, first 2 shown]
	v_pk_add_f16 v0, v0, v9
	v_sub_f16_e32 v9, v9, v11
	v_fma_f16 v74, -0.5, v1, v17
	v_sub_f16_e32 v85, v83, v84
	v_lshrrev_b32_e32 v110, 16, v18
	v_pk_add_f16 v0, v0, v68
	v_add_f16_e32 v68, v11, v66
	v_sub_f16_e32 v11, v11, v66
	v_sub_f16_e32 v119, v6, v18
	;; [unrolled: 1-line block ×3, first 2 shown]
	v_pk_add_f16 v70, v0, v66
	v_lshrrev_b32_e32 v66, 16, v66
	v_add_f16_e32 v0, v9, v14
	v_fma_f16 v68, -0.5, v68, v17
	v_sub_f16_e32 v14, v16, v8
	v_lshrrev_b32_e32 v17, 16, v17
	v_sub_f16_e32 v72, v67, v66
	v_sub_f16_e32 v1, v8, v66
	;; [unrolled: 1-line block ×3, first 2 shown]
	v_fmamk_f16 v9, v14, 0x3b9c, v68
	v_fmac_f16_e32 v68, 0xbb9c, v14
	v_add_f16_e32 v10, v65, v10
	v_sub_f16_e32 v65, v110, v84
	s_delay_alu instid0(VALU_DEP_4) | instskip(NEXT) | instid1(VALU_DEP_4)
	v_fmac_f16_e32 v9, 0xb8b4, v72
	v_fmac_f16_e32 v68, 0x38b4, v72
	s_delay_alu instid0(VALU_DEP_2) | instskip(NEXT) | instid1(VALU_DEP_2)
	v_fmac_f16_e32 v9, 0x34f2, v0
	v_fmac_f16_e32 v68, 0x34f2, v0
	v_add_f16_e32 v0, v16, v8
	v_sub_f16_e32 v8, v66, v8
	s_delay_alu instid0(VALU_DEP_2) | instskip(SKIP_2) | instid1(VALU_DEP_2)
	v_fma_f16 v76, -0.5, v0, v17
	v_add_f16_e32 v0, v67, v66
	v_sub_f16_e32 v66, v18, v2
	v_fmac_f16_e32 v17, -0.5, v0
	v_sub_f16_e32 v0, v16, v67
	v_sub_f16_e32 v16, v67, v16
	;; [unrolled: 1-line block ×3, first 2 shown]
	s_delay_alu instid0(VALU_DEP_4)
	v_fmamk_f16 v78, v15, 0xbb9c, v17
	v_fmac_f16_e32 v17, 0x3b9c, v15
	v_add_f16_e32 v0, v0, v1
	v_sub_f16_e32 v1, v4, v6
	v_add_f16_e32 v16, v16, v8
	v_fmac_f16_e32 v78, 0x38b4, v11
	v_fmac_f16_e32 v17, 0xb8b4, v11
	v_sub_f16_e32 v8, v109, v83
	v_add_f16_e32 v66, v67, v66
	s_delay_alu instid0(VALU_DEP_4) | instskip(NEXT) | instid1(VALU_DEP_4)
	v_fmac_f16_e32 v78, 0x34f2, v0
	v_fmac_f16_e32 v17, 0x34f2, v0
	v_sub_f16_e32 v0, v2, v18
	v_add_f16_e32 v65, v8, v65
	v_add_f16_e32 v8, v4, v2
	s_delay_alu instid0(VALU_DEP_3) | instskip(SKIP_1) | instid1(VALU_DEP_3)
	v_add_f16_e32 v0, v1, v0
	v_add_f16_e32 v1, v6, v18
	v_fma_f16 v67, -0.5, v8, v12
	v_pk_add_f16 v6, v12, v6
	s_delay_alu instid0(VALU_DEP_3) | instskip(SKIP_1) | instid1(VALU_DEP_2)
	v_fma_f16 v1, -0.5, v1, v12
	v_lshrrev_b32_e32 v12, 16, v75
	v_fmamk_f16 v86, v85, 0x3b9c, v1
	v_fmac_f16_e32 v1, 0xbb9c, v85
	s_delay_alu instid0(VALU_DEP_2) | instskip(NEXT) | instid1(VALU_DEP_2)
	v_fmac_f16_e32 v86, 0xb8b4, v112
	v_fmac_f16_e32 v1, 0x38b4, v112
	s_delay_alu instid0(VALU_DEP_2) | instskip(NEXT) | instid1(VALU_DEP_2)
	v_fmac_f16_e32 v86, 0x34f2, v0
	v_fmac_f16_e32 v1, 0x34f2, v0
	v_add_f16_e32 v0, v83, v84
	s_delay_alu instid0(VALU_DEP_1) | instskip(SKIP_1) | instid1(VALU_DEP_2)
	v_fma_f16 v116, -0.5, v0, v113
	v_add_f16_e32 v0, v109, v110
	v_fmamk_f16 v8, v119, 0x3b9c, v116
	s_delay_alu instid0(VALU_DEP_2) | instskip(SKIP_4) | instid1(VALU_DEP_4)
	v_fmac_f16_e32 v113, -0.5, v0
	v_sub_f16_e32 v0, v83, v109
	v_fmamk_f16 v83, v112, 0xbb9c, v67
	v_fmac_f16_e32 v116, 0xbb9c, v119
	v_fmac_f16_e32 v67, 0x3b9c, v112
	v_add_f16_e32 v0, v0, v117
	v_sub_f16_e32 v117, v4, v2
	v_fmac_f16_e32 v83, 0xb8b4, v85
	s_delay_alu instid0(VALU_DEP_4)
	v_fmac_f16_e32 v67, 0x38b4, v85
	v_pk_add_f16 v4, v6, v4
	v_sub_f16_e32 v6, v71, v69
	v_fmamk_f16 v118, v117, 0xbb9c, v113
	v_fmac_f16_e32 v113, 0x3b9c, v117
	v_fmac_f16_e32 v8, 0x38b4, v117
	;; [unrolled: 1-line block ×11, first 2 shown]
	v_mul_f16_e32 v84, 0xb8b4, v8
	v_pk_add_f16 v2, v4, v2
	v_mul_f16_e32 v65, 0xba79, v116
	v_mul_f16_e32 v123, 0xbb9c, v118
	;; [unrolled: 1-line block ×5, first 2 shown]
	v_fmac_f16_e32 v84, 0x3a79, v83
	v_fmac_f16_e32 v123, 0x34f2, v86
	;; [unrolled: 1-line block ×5, first 2 shown]
	v_mul_f16_e32 v83, 0x38b4, v83
	v_fmac_f16_e32 v65, 0x38b4, v67
	v_add_f16_e32 v0, v68, v122
	v_add_f16_e32 v1, v17, v113
	;; [unrolled: 1-line block ×3, first 2 shown]
	v_fmac_f16_e32 v83, 0x3a79, v8
	v_sub_f16_e32 v8, v9, v123
	v_pk_add_f16 v2, v2, v18
	v_pack_b32_f16 v1, v0, v1
	v_add_f16_e32 v0, v9, v123
	v_sub_f16_e32 v9, v78, v118
	v_fmamk_f16 v78, v72, 0xbb9c, v74
	v_fmac_f16_e32 v74, 0x3b9c, v72
	v_lshrrev_b32_e32 v66, 16, v73
	v_pack_b32_f16 v0, v0, v86
	v_fmamk_f16 v86, v11, 0x3b9c, v76
	v_fmac_f16_e32 v76, 0xbb9c, v11
	v_fmac_f16_e32 v78, 0xb8b4, v14
	;; [unrolled: 1-line block ×3, first 2 shown]
	v_pack_b32_f16 v9, v8, v9
	v_fmac_f16_e32 v86, 0x38b4, v15
	v_fmac_f16_e32 v76, 0xb8b4, v15
	;; [unrolled: 1-line block ×4, first 2 shown]
	v_pk_add_f16 v10, v70, v2
	v_fmac_f16_e32 v86, 0x34f2, v16
	v_fmac_f16_e32 v76, 0x34f2, v16
	v_mul_f16_e32 v16, 0xb8b4, v116
	v_add_f16_e32 v11, v78, v84
	v_sub_f16_e32 v8, v78, v84
	v_add_f16_e32 v14, v86, v83
	v_sub_f16_e32 v109, v86, v83
	v_fmac_f16_e32 v16, 0xba79, v67
	v_pk_add_f16 v15, v70, v2 neg_lo:[0,1] neg_hi:[0,1]
	v_add_f16_e32 v4, v76, v65
	v_pack_b32_f16 v11, v11, v14
	v_pack_b32_f16 v8, v8, v109
	v_add_f16_e32 v2, v74, v16
	v_sub_f16_e32 v70, v19, v3
	v_sub_f16_e32 v72, v5, v3
	s_delay_alu instid0(VALU_DEP_3)
	v_pack_b32_f16 v14, v2, v4
	ds_store_2addr_b64 v170, v[10:11], v[0:1] offset1:1
	ds_store_2addr_b64 v170, v[14:15], v[8:9] offset0:2 offset1:3
	v_sub_f16_e32 v0, v68, v122
	v_sub_f16_e32 v1, v74, v16
	;; [unrolled: 1-line block ×4, first 2 shown]
	v_lshrrev_b32_e32 v9, 16, v77
	v_sub_f16_e32 v11, v77, v75
	v_add_f16_e32 v14, v75, v69
	v_pack_b32_f16 v1, v1, v2
	v_pack_b32_f16 v0, v0, v4
	v_lshrrev_b32_e32 v2, 16, v71
	v_lshrrev_b32_e32 v17, 16, v69
	v_sub_f16_e32 v8, v77, v71
	v_sub_f16_e32 v15, v75, v69
	ds_store_b64 v170, v[0:1] offset:32
	v_pk_add_f16 v0, v73, v75
	v_sub_f16_e32 v18, v12, v17
	v_add_f16_e32 v1, v77, v71
	v_sub_f16_e32 v4, v69, v71
	v_sub_f16_e32 v10, v75, v77
	v_pk_add_f16 v0, v0, v77
	v_add_f16_e32 v75, v7, v19
	v_fma_f16 v65, -0.5, v1, v73
	v_sub_f16_e32 v1, v2, v17
	v_lshrrev_b32_e32 v74, 16, v7
	v_pk_add_f16 v0, v0, v71
	v_sub_f16_e32 v71, v3, v19
	v_add_f16_e32 v4, v10, v4
	s_delay_alu instid0(VALU_DEP_3)
	v_pk_add_f16 v16, v0, v69
	v_add_f16_e32 v0, v11, v6
	v_fma_f16 v11, -0.5, v14, v73
	v_sub_f16_e32 v6, v9, v2
	v_lshrrev_b32_e32 v69, 16, v3
	v_sub_f16_e32 v73, v7, v5
	s_delay_alu instid0(VALU_DEP_3) | instskip(SKIP_1) | instid1(VALU_DEP_3)
	v_fmamk_f16 v14, v6, 0x3b9c, v11
	v_fmac_f16_e32 v11, 0xbb9c, v6
	v_add_f16_e32 v10, v73, v70
	s_delay_alu instid0(VALU_DEP_3) | instskip(NEXT) | instid1(VALU_DEP_3)
	v_fmac_f16_e32 v14, 0xb8b4, v18
	v_fmac_f16_e32 v11, 0x38b4, v18
	s_delay_alu instid0(VALU_DEP_2) | instskip(NEXT) | instid1(VALU_DEP_2)
	v_fmac_f16_e32 v14, 0x34f2, v0
	v_fmac_f16_e32 v11, 0x34f2, v0
	v_add_f16_e32 v0, v9, v2
	v_sub_f16_e32 v2, v17, v2
	s_delay_alu instid0(VALU_DEP_2) | instskip(SKIP_1) | instid1(VALU_DEP_1)
	v_fma_f16 v67, -0.5, v0, v66
	v_add_f16_e32 v0, v12, v17
	v_fmac_f16_e32 v66, -0.5, v0
	v_sub_f16_e32 v0, v9, v12
	v_sub_f16_e32 v9, v12, v9
	s_delay_alu instid0(VALU_DEP_3) | instskip(SKIP_1) | instid1(VALU_DEP_4)
	v_fmamk_f16 v68, v8, 0xbb9c, v66
	v_fmac_f16_e32 v66, 0x3b9c, v8
	v_add_f16_e32 v0, v0, v1
	v_add_f16_e32 v1, v5, v3
	;; [unrolled: 1-line block ×3, first 2 shown]
	v_fmac_f16_e32 v68, 0x38b4, v15
	v_fmac_f16_e32 v66, 0xb8b4, v15
	s_delay_alu instid0(VALU_DEP_4) | instskip(NEXT) | instid1(VALU_DEP_3)
	v_fma_f16 v78, -0.5, v1, v13
	v_fmac_f16_e32 v68, 0x34f2, v0
	s_delay_alu instid0(VALU_DEP_3) | instskip(SKIP_1) | instid1(VALU_DEP_1)
	v_fmac_f16_e32 v66, 0x34f2, v0
	v_pk_add_f16 v0, v13, v7
	v_pk_add_f16 v0, v0, v5
	s_delay_alu instid0(VALU_DEP_1) | instskip(SKIP_3) | instid1(VALU_DEP_4)
	v_pk_add_f16 v0, v0, v3
	v_lshrrev_b32_e32 v3, 16, v5
	v_sub_f16_e32 v5, v5, v7
	v_sub_f16_e32 v7, v7, v19
	v_pk_add_f16 v76, v0, v19
	v_lshrrev_b32_e32 v19, 16, v19
	s_delay_alu instid0(VALU_DEP_4)
	v_add_f16_e32 v0, v5, v71
	v_fma_f16 v5, -0.5, v75, v13
	v_sub_f16_e32 v71, v3, v69
	v_add_f16_e32 v1, v3, v69
	v_sub_f16_e32 v77, v74, v19
	v_sub_f16_e32 v83, v69, v19
	;; [unrolled: 1-line block ×3, first 2 shown]
	v_fmamk_f16 v75, v71, 0x3b9c, v5
	v_fmac_f16_e32 v5, 0xbb9c, v71
	s_delay_alu instid0(VALU_DEP_2) | instskip(NEXT) | instid1(VALU_DEP_2)
	v_fmac_f16_e32 v75, 0xb8b4, v77
	v_fmac_f16_e32 v5, 0x38b4, v77
	s_delay_alu instid0(VALU_DEP_2) | instskip(NEXT) | instid1(VALU_DEP_2)
	v_fmac_f16_e32 v75, 0x34f2, v0
	v_fmac_f16_e32 v5, 0x34f2, v0
	v_lshrrev_b32_e32 v0, 16, v13
	s_delay_alu instid0(VALU_DEP_1) | instskip(SKIP_1) | instid1(VALU_DEP_2)
	v_fma_f16 v13, -0.5, v1, v0
	v_add_f16_e32 v1, v74, v19
	v_fmamk_f16 v2, v7, 0x3b9c, v13
	s_delay_alu instid0(VALU_DEP_2) | instskip(SKIP_4) | instid1(VALU_DEP_4)
	v_fmac_f16_e32 v0, -0.5, v1
	v_sub_f16_e32 v1, v3, v74
	v_sub_f16_e32 v3, v74, v3
	v_fmac_f16_e32 v13, 0xbb9c, v7
	v_fmac_f16_e32 v2, 0x38b4, v72
	v_add_f16_e32 v1, v1, v83
	v_fmamk_f16 v83, v72, 0xbb9c, v0
	v_fmac_f16_e32 v0, 0x3b9c, v72
	v_add_f16_e32 v12, v3, v12
	v_fmamk_f16 v3, v77, 0xbb9c, v78
	v_fmac_f16_e32 v78, 0x3b9c, v77
	v_fmac_f16_e32 v83, 0x38b4, v7
	;; [unrolled: 1-line block ×8, first 2 shown]
	v_mul_f16_e32 v17, 0xb8b4, v2
	v_fmac_f16_e32 v3, 0x34f2, v10
	v_fmac_f16_e32 v78, 0x38b4, v71
	;; [unrolled: 1-line block ×3, first 2 shown]
	v_mul_f16_e32 v84, 0xbb9c, v0
	v_mul_f16_e32 v85, 0xb4f2, v0
	;; [unrolled: 1-line block ×3, first 2 shown]
	v_fmac_f16_e32 v17, 0x3a79, v3
	v_fmac_f16_e32 v78, 0x34f2, v10
	;; [unrolled: 1-line block ×4, first 2 shown]
	v_mul_f16_e32 v5, 0xbb9c, v83
	v_mul_f16_e32 v83, 0x34f2, v83
	v_fmac_f16_e32 v19, 0x3a79, v2
	v_add_f16_e32 v0, v11, v84
	v_add_f16_e32 v1, v66, v85
	v_fmac_f16_e32 v5, 0x34f2, v75
	v_fmac_f16_e32 v83, 0x3b9c, v75
	v_pk_add_f16 v7, v16, v76 neg_lo:[0,1] neg_hi:[0,1]
	s_delay_alu instid0(VALU_DEP_4) | instskip(NEXT) | instid1(VALU_DEP_4)
	v_pack_b32_f16 v1, v0, v1
	v_add_f16_e32 v0, v14, v5
	v_sub_f16_e32 v2, v14, v5
	v_fmamk_f16 v5, v18, 0xbb9c, v65
	v_fmamk_f16 v14, v15, 0x3b9c, v67
	v_fmac_f16_e32 v67, 0xbb9c, v15
	v_fmac_f16_e32 v65, 0x3b9c, v18
	v_sub_f16_e32 v3, v68, v83
	v_fmac_f16_e32 v5, 0xb8b4, v6
	v_fmac_f16_e32 v14, 0x38b4, v8
	;; [unrolled: 1-line block ×4, first 2 shown]
	v_mul_f16_e32 v8, 0xb8b4, v13
	v_fmac_f16_e32 v5, 0x34f2, v4
	v_fmac_f16_e32 v14, 0x34f2, v9
	;; [unrolled: 1-line block ×3, first 2 shown]
	v_mul_f16_e32 v9, 0xba79, v13
	v_pack_b32_f16 v3, v2, v3
	v_sub_f16_e32 v2, v5, v17
	v_add_f16_e32 v5, v5, v17
	v_add_f16_e32 v6, v14, v19
	v_fmac_f16_e32 v65, 0x34f2, v4
	v_fmac_f16_e32 v8, 0xba79, v78
	;; [unrolled: 1-line block ×3, first 2 shown]
	v_add_f16_e32 v75, v68, v83
	v_sub_f16_e32 v68, v14, v19
	v_pack_b32_f16 v5, v5, v6
	v_add_f16_e32 v6, v65, v8
	v_add_f16_e32 v10, v67, v9
	v_pack_b32_f16 v0, v0, v75
	v_pk_add_f16 v4, v16, v76
	v_pack_b32_f16 v2, v2, v68
	s_delay_alu instid0(VALU_DEP_4)
	v_pack_b32_f16 v6, v6, v10
	ds_store_2addr_b64 v169, v[4:5], v[0:1] offset1:1
	ds_store_2addr_b64 v169, v[6:7], v[2:3] offset0:2 offset1:3
	v_sub_f16_e32 v0, v11, v84
	v_sub_f16_e32 v1, v65, v8
	;; [unrolled: 1-line block ×4, first 2 shown]
	s_delay_alu instid0(VALU_DEP_2) | instskip(NEXT) | instid1(VALU_DEP_2)
	v_pack_b32_f16 v1, v1, v2
	v_pack_b32_f16 v0, v0, v3
	ds_store_b64 v169, v[0:1] offset:32
	global_wb scope:SCOPE_SE
	s_wait_dscnt 0x0
	s_barrier_signal -1
	s_barrier_wait -1
	global_inv scope:SCOPE_SE
	ds_load_2addr_b32 v[65:66], v154 offset0:112 offset1:232
	s_wait_dscnt 0x0
	v_lshrrev_b32_e32 v0, 16, v66
	v_mul_f16_e64 v1, v243, v66
	s_delay_alu instid0(VALU_DEP_2) | instskip(NEXT) | instid1(VALU_DEP_2)
	v_mul_f16_e64 v72, v243, v0
	v_fma_f16 v73, v32, v0, -v1
	ds_load_2addr_b32 v[0:1], v152 offset0:80 offset1:200
	v_fmac_f16_e32 v72, v32, v66
	s_wait_dscnt 0x0
	v_lshrrev_b32_e32 v2, 16, v0
	v_mul_f16_e64 v3, v253, v0
	s_delay_alu instid0(VALU_DEP_2) | instskip(NEXT) | instid1(VALU_DEP_2)
	v_mul_f16_e64 v77, v253, v2
	v_fma_f16 v76, v33, v2, -v3
	ds_load_2addr_b32 v[2:3], v153 offset0:64 offset1:184
	v_fmac_f16_e32 v77, v33, v0
	;; [unrolled: 8-line block ×3, first 2 shown]
	v_lshrrev_b32_e32 v3, 16, v1
	s_delay_alu instid0(VALU_DEP_1) | instskip(NEXT) | instid1(VALU_DEP_1)
	v_mul_f16_e64 v68, v244, v3
	v_fmac_f16_e32 v68, v45, v1
	s_wait_dscnt 0x0
	v_lshrrev_b32_e32 v6, 16, v4
	v_mul_f16_e64 v7, v254, v4
	s_delay_alu instid0(VALU_DEP_2) | instskip(NEXT) | instid1(VALU_DEP_2)
	v_mul_f16_e64 v241, v254, v6
	v_fma_f16 v170, v35, v6, -v7
	v_lshrrev_b32_e32 v6, 16, v5
	s_delay_alu instid0(VALU_DEP_3)
	v_fmac_f16_e64 v241, v35, v4
	v_mul_f16_e64 v4, v244, v1
	ds_load_2addr_b32 v[0:1], v115 offset0:96 offset1:216
	v_mul_f16_e64 v69, v247, v6
	v_fma_f16 v45, v45, v3, -v4
	ds_load_2addr_b32 v[3:4], v114 offset0:48 offset1:168
	v_fmac_f16_e32 v69, v47, v5
	v_mul_f16_e64 v5, v247, v5
	s_delay_alu instid0(VALU_DEP_1) | instskip(SKIP_3) | instid1(VALU_DEP_2)
	v_fma_f16 v47, v47, v6, -v5
	s_wait_dscnt 0x1
	v_lshrrev_b32_e32 v7, 16, v0
	v_mul_f16_e64 v8, v238, v0
	v_mul_f16_e64 v66, v238, v7
	s_wait_dscnt 0x0
	v_lshrrev_b32_e32 v6, 16, v4
	s_delay_alu instid0(VALU_DEP_3)
	v_fma_f16 v67, v44, v7, -v8
	v_lshrrev_b32_e32 v7, 16, v3
	v_mul_f16_e64 v8, v239, v3
	v_fmac_f16_e32 v66, v44, v0
	v_lshrrev_b32_e32 v0, 16, v1
	v_mul_f16_e64 v34, v203, v6
	v_mul_f16_e64 v71, v239, v7
	v_fma_f16 v70, v46, v7, -v8
	v_mul_f16_e64 v7, v203, v4
	v_mul_f16_e64 v32, v202, v0
	v_fmac_f16_e32 v34, v93, v4
	v_fmac_f16_e32 v71, v46, v3
	v_lshrrev_b32_e32 v3, 16, v2
	v_fma_f16 v35, v93, v6, -v7
	v_fmac_f16_e32 v32, v91, v1
	v_mul_f16_e64 v1, v202, v1
	s_delay_alu instid0(VALU_DEP_4) | instskip(NEXT) | instid1(VALU_DEP_2)
	v_mul_f16_e64 v33, v167, v3
	v_fma_f16 v4, v91, v0, -v1
	ds_load_2addr_b32 v[0:1], v120 offset0:16 offset1:136
	v_fmac_f16_e32 v33, v92, v2
	v_mul_f16_e64 v2, v167, v2
	s_delay_alu instid0(VALU_DEP_1) | instskip(SKIP_3) | instid1(VALU_DEP_2)
	v_fma_f16 v5, v92, v3, -v2
	s_wait_dscnt 0x0
	v_lshrrev_b32_e32 v2, 16, v0
	v_mul_f16_e64 v3, v166, v0
	v_mul_f16_e64 v44, v166, v2
	s_delay_alu instid0(VALU_DEP_2) | instskip(SKIP_1) | instid1(VALU_DEP_3)
	v_fma_f16 v6, v94, v2, -v3
	v_mul_f16_e64 v2, v221, v1
	v_fmac_f16_e32 v44, v94, v0
	v_lshrrev_b32_e32 v0, 16, v1
	s_delay_alu instid0(VALU_DEP_1) | instskip(NEXT) | instid1(VALU_DEP_4)
	v_mul_f16_e64 v238, v221, v0
	v_fma_f16 v203, v87, v0, -v2
	s_delay_alu instid0(VALU_DEP_2) | instskip(SKIP_4) | instid1(VALU_DEP_2)
	v_fmac_f16_e64 v238, v87, v1
	ds_load_2addr_b32 v[0:1], v139 offset0:112 offset1:232
	s_wait_dscnt 0x0
	v_lshrrev_b32_e32 v2, 16, v0
	v_mul_f16_e64 v3, v233, v0
	v_mul_f16_e64 v239, v233, v2
	s_delay_alu instid0(VALU_DEP_2) | instskip(SKIP_3) | instid1(VALU_DEP_2)
	v_fma_f16 v233, v88, v2, -v3
	ds_load_2addr_b32 v[2:3], v133 offset0:96 offset1:216
	v_fmac_f16_e64 v239, v88, v0
	v_sub_f16_e64 v14, v170, v233
	v_sub_f16_e64 v88, v241, v239
	s_wait_dscnt 0x0
	v_lshrrev_b32_e32 v7, 16, v3
	v_mul_f16_e64 v8, v220, v3
	s_delay_alu instid0(VALU_DEP_2) | instskip(NEXT) | instid1(VALU_DEP_2)
	v_mul_f16_e64 v221, v220, v7
	v_fma_f16 v220, v89, v7, -v8
	ds_load_2addr_b32 v[7:8], v145 offset0:64 offset1:184
	v_fmac_f16_e64 v221, v89, v3
	v_lshrrev_b32_e32 v3, 16, v1
	s_delay_alu instid0(VALU_DEP_1) | instskip(NEXT) | instid1(VALU_DEP_1)
	v_mul_f16_e64 v161, v231, v3
	v_fmac_f16_e64 v161, v29, v1
	s_wait_dscnt 0x0
	v_lshrrev_b32_e32 v9, 16, v7
	v_mul_f16_e64 v10, v235, v7
	s_delay_alu instid0(VALU_DEP_2) | instskip(NEXT) | instid1(VALU_DEP_2)
	v_mul_f16_e64 v243, v235, v9
	v_fma_f16 v235, v90, v9, -v10
	v_lshrrev_b32_e32 v9, 16, v8
	v_mul_f16_e64 v10, v234, v8
	s_delay_alu instid0(VALU_DEP_4)
	v_fmac_f16_e64 v243, v90, v7
	v_mul_f16_e64 v7, v231, v1
	ds_load_2addr_b32 v[0:1], v125 offset0:128 offset1:248
	v_mul_f16_e64 v169, v234, v9
	v_sub_f16_e64 v12, v76, v235
	v_sub_f16_e64 v86, v77, v243
	v_fma_f16 v46, v29, v3, -v7
	v_sub_f16_e64 v90, v233, v235
	v_fmac_f16_e64 v169, v31, v8
	v_fma_f16 v31, v31, v9, -v10
	s_delay_alu instid0(VALU_DEP_1) | instskip(SKIP_3) | instid1(VALU_DEP_2)
	v_sub_f16_e32 v91, v31, v46
	s_wait_dscnt 0x0
	v_lshrrev_b32_e32 v8, 16, v0
	v_mul_f16_e64 v11, v226, v0
	v_mul_f16_e64 v167, v226, v8
	s_delay_alu instid0(VALU_DEP_2) | instskip(SKIP_4) | instid1(VALU_DEP_1)
	v_fma_f16 v78, v28, v8, -v11
	ds_load_2addr_b32 v[7:8], v107 offset0:80 offset1:200
	v_sub_f16_e64 v226, v238, v221
	v_fmac_f16_e64 v167, v28, v0
	v_lshrrev_b32_e32 v0, 16, v1
	v_mul_f16_e64 v16, v194, v0
	s_delay_alu instid0(VALU_DEP_1) | instskip(SKIP_4) | instid1(VALU_DEP_3)
	v_fmac_f16_e32 v16, v95, v1
	v_mul_f16_e64 v1, v194, v1
	s_wait_dscnt 0x0
	v_lshrrev_b32_e32 v3, 16, v7
	v_mul_f16_e64 v11, v228, v7
	v_fma_f16 v18, v95, v0, -v1
	ds_load_2addr_b32 v[0:1], v141 offset0:48 offset1:168
	v_lshrrev_b32_e32 v9, 16, v8
	v_mul_f16_e64 v202, v228, v3
	v_fma_f16 v166, v30, v3, -v11
	v_lshrrev_b32_e32 v3, 16, v2
	v_mul_f16_e64 v10, v195, v8
	v_mul_f16_e64 v17, v195, v9
	v_fmac_f16_e64 v202, v30, v7
	v_sub_f16_e64 v228, v203, v220
	v_mul_f16_e64 v19, v164, v3
	v_fma_f16 v28, v97, v9, -v10
	v_fmac_f16_e32 v17, v97, v8
	v_add_f16_e32 v10, v72, v75
	v_add_f16_e32 v11, v73, v74
	v_fmac_f16_e32 v19, v96, v2
	v_mul_f16_e64 v2, v164, v2
	s_delay_alu instid0(VALU_DEP_4) | instskip(NEXT) | instid1(VALU_DEP_4)
	v_add_f16_e64 v10, v10, v238
	v_add_f16_e64 v11, v11, v203
	s_delay_alu instid0(VALU_DEP_3)
	v_fma_f16 v7, v96, v3, -v2
	s_wait_dscnt 0x0
	v_lshrrev_b32_e32 v2, 16, v0
	v_mul_f16_e64 v3, v163, v0
	v_add_f16_e64 v10, v10, v221
	v_add_f16_e64 v11, v11, v220
	s_delay_alu instid0(VALU_DEP_4) | instskip(NEXT) | instid1(VALU_DEP_4)
	v_mul_f16_e64 v29, v163, v2
	v_fma_f16 v2, v98, v2, -v3
	v_mul_f16_e64 v3, v218, v1
	s_delay_alu instid0(VALU_DEP_3) | instskip(SKIP_1) | instid1(VALU_DEP_1)
	v_fmac_f16_e32 v29, v98, v0
	v_lshrrev_b32_e32 v0, 16, v1
	v_mul_f16_e64 v163, v218, v0
	s_delay_alu instid0(VALU_DEP_4) | instskip(SKIP_1) | instid1(VALU_DEP_3)
	v_fma_f16 v30, v216, v0, -v3
	v_sub_f16_e64 v0, v77, v241
	v_fmac_f16_e64 v163, v216, v1
	v_sub_f16_e64 v1, v243, v239
	s_delay_alu instid0(VALU_DEP_4) | instskip(SKIP_1) | instid1(VALU_DEP_4)
	v_sub_f16_e64 v234, v74, v30
	v_add_f16_e32 v85, v11, v30
	v_sub_f16_e64 v231, v75, v163
	s_delay_alu instid0(VALU_DEP_4) | instskip(SKIP_3) | instid1(VALU_DEP_2)
	v_add_f16_e32 v3, v0, v1
	v_sub_f16_e64 v0, v76, v170
	v_sub_f16_e64 v1, v235, v233
	v_add_f16_e64 v84, v10, v163
	v_add_f16_e64 v164, v0, v1
	v_sub_f16_e64 v0, v75, v238
	v_sub_f16_e64 v1, v163, v221
	s_delay_alu instid0(VALU_DEP_1) | instskip(SKIP_2) | instid1(VALU_DEP_1)
	v_add_f16_e64 v194, v0, v1
	v_sub_f16_e64 v0, v74, v203
	v_sub_f16_e64 v1, v30, v220
	v_add_f16_e64 v218, v0, v1
	v_add_f16_e64 v0, v238, v221
	s_delay_alu instid0(VALU_DEP_1) | instskip(SKIP_1) | instid1(VALU_DEP_2)
	v_fma_f16 v195, -0.5, v0, v72
	v_add_f16_e64 v0, v203, v220
	v_fma_f16 v1, 0xbb9c, v234, v195
	s_delay_alu instid0(VALU_DEP_2) | instskip(SKIP_1) | instid1(VALU_DEP_3)
	v_fma_f16 v216, -0.5, v0, v73
	v_fmac_f16_e64 v195, 0x3b9c, v234
	v_fmac_f16_e64 v1, 0xb8b4, v228
	s_delay_alu instid0(VALU_DEP_3) | instskip(SKIP_1) | instid1(VALU_DEP_4)
	v_fma_f16 v0, 0x3b9c, v231, v216
	v_fmac_f16_e64 v216, 0xbb9c, v231
	v_fmac_f16_e64 v195, 0x38b4, v228
	s_delay_alu instid0(VALU_DEP_4) | instskip(NEXT) | instid1(VALU_DEP_4)
	v_fmac_f16_e64 v1, 0x34f2, v194
	v_fmac_f16_e64 v0, 0x38b4, v226
	s_delay_alu instid0(VALU_DEP_4) | instskip(NEXT) | instid1(VALU_DEP_4)
	v_fmac_f16_e64 v216, 0xb8b4, v226
	v_fmac_f16_e64 v195, 0x34f2, v194
	s_delay_alu instid0(VALU_DEP_3) | instskip(NEXT) | instid1(VALU_DEP_3)
	v_fmac_f16_e64 v0, 0x34f2, v218
	v_fmac_f16_e64 v216, 0x34f2, v218
	s_delay_alu instid0(VALU_DEP_2) | instskip(SKIP_1) | instid1(VALU_DEP_2)
	v_mul_f16_e64 v244, 0xb8b4, v0
	v_mul_f16_e64 v253, 0x3a79, v0
	v_fmac_f16_e64 v244, 0x3a79, v1
	s_delay_alu instid0(VALU_DEP_2) | instskip(SKIP_4) | instid1(VALU_DEP_2)
	v_fmac_f16_e64 v253, 0x38b4, v1
	ds_load_2addr_b32 v[0:1], v134 offset1:120
	s_wait_dscnt 0x0
	v_lshrrev_b32_e32 v247, 16, v0
	v_add_f16_e32 v8, v0, v77
	v_add_f16_e64 v9, v247, v76
	s_delay_alu instid0(VALU_DEP_2) | instskip(NEXT) | instid1(VALU_DEP_2)
	v_add_f16_e64 v8, v8, v241
	v_add_f16_e64 v9, v9, v170
	s_delay_alu instid0(VALU_DEP_2) | instskip(NEXT) | instid1(VALU_DEP_2)
	v_add_f16_e64 v8, v8, v239
	;; [unrolled: 3-line block ×4, first 2 shown]
	v_add_f16_e32 v9, v83, v85
	s_delay_alu instid0(VALU_DEP_1) | instskip(SKIP_1) | instid1(VALU_DEP_1)
	v_pack_b32_f16 v10, v8, v9
	v_add_f16_e64 v8, v241, v239
	v_fma_f16 v11, -0.5, v8, v0
	v_add_f16_e64 v8, v170, v233
	s_delay_alu instid0(VALU_DEP_2) | instskip(NEXT) | instid1(VALU_DEP_2)
	v_fmamk_f16 v13, v12, 0xbb9c, v11
	v_fma_f16 v15, -0.5, v8, v247
	v_fmac_f16_e32 v11, 0x3b9c, v12
	s_delay_alu instid0(VALU_DEP_3) | instskip(NEXT) | instid1(VALU_DEP_3)
	v_fmac_f16_e32 v13, 0xb8b4, v14
	v_fmamk_f16 v87, v86, 0x3b9c, v15
	v_fmac_f16_e32 v15, 0xbb9c, v86
	s_delay_alu instid0(VALU_DEP_4) | instskip(NEXT) | instid1(VALU_DEP_4)
	v_fmac_f16_e32 v11, 0x38b4, v14
	v_fmac_f16_e32 v13, 0x34f2, v3
	s_delay_alu instid0(VALU_DEP_4) | instskip(NEXT) | instid1(VALU_DEP_4)
	v_fmac_f16_e32 v87, 0x38b4, v88
	v_fmac_f16_e32 v15, 0xb8b4, v88
	s_delay_alu instid0(VALU_DEP_4)
	v_fmac_f16_e32 v11, 0x34f2, v3
	v_mul_f16_e64 v3, 0xb8b4, v216
	v_add_f16_e64 v8, v13, v244
	v_fmac_f16_e64 v87, 0x34f2, v164
	v_fmac_f16_e64 v15, 0x34f2, v164
	v_sub_f16_e64 v13, v13, v244
	v_fmac_f16_e64 v3, 0xba79, v195
	s_delay_alu instid0(VALU_DEP_4) | instskip(NEXT) | instid1(VALU_DEP_1)
	v_add_f16_e64 v9, v87, v253
	v_pack_b32_f16 v89, v8, v9
	ds_load_2addr_b32 v[8:9], v128 offset0:32 offset1:152
	global_wb scope:SCOPE_SE
	s_wait_dscnt 0x0
	s_barrier_signal -1
	s_barrier_wait -1
	global_inv scope:SCOPE_SE
	ds_store_2addr_b32 v173, v10, v89 offset1:10
	v_sub_f16_e64 v10, v241, v77
	v_add_f16_e64 v77, v77, v243
	v_sub_f16_e64 v89, v239, v243
	s_delay_alu instid0(VALU_DEP_2) | instskip(NEXT) | instid1(VALU_DEP_2)
	v_fma_f16 v0, -0.5, v77, v0
	v_add_f16_e32 v10, v10, v89
	v_sub_f16_e64 v89, v170, v76
	v_add_f16_e64 v76, v76, v235
	s_delay_alu instid0(VALU_DEP_4) | instskip(SKIP_2) | instid1(VALU_DEP_4)
	v_fmamk_f16 v77, v14, 0x3b9c, v0
	v_fmac_f16_e32 v0, 0xbb9c, v14
	v_sub_f16_e64 v14, v254, v84
	v_fmac_f16_e64 v247, -0.5, v76
	v_sub_f16_e64 v76, v238, v75
	v_fmac_f16_e32 v77, 0xb8b4, v12
	v_fmac_f16_e32 v0, 0x38b4, v12
	v_add_f16_e64 v75, v75, v163
	v_mul_f16_e64 v12, 0xba79, v216
	v_sub_f16_e64 v84, v167, v202
	v_fmac_f16_e32 v77, 0x34f2, v10
	v_fmac_f16_e32 v0, 0x34f2, v10
	v_add_f16_e32 v10, v89, v90
	v_fma_f16 v90, 0xbb9c, v88, v247
	v_fmac_f16_e64 v247, 0x3b9c, v88
	v_fmac_f16_e32 v72, -0.5, v75
	v_add_f16_e32 v75, v74, v30
	v_sub_f16_e64 v89, v221, v163
	v_fmac_f16_e32 v90, 0x38b4, v86
	v_fmac_f16_e64 v247, 0xb8b4, v86
	v_sub_f16_e64 v74, v203, v74
	v_fmac_f16_e32 v73, -0.5, v75
	v_fma_f16 v75, 0x3b9c, v228, v72
	v_fmac_f16_e64 v72, 0xbb9c, v228
	v_fmac_f16_e32 v90, 0x34f2, v10
	v_fmac_f16_e64 v247, 0x34f2, v10
	v_add_f16_e32 v10, v76, v89
	v_sub_f16_e64 v30, v220, v30
	v_fmac_f16_e64 v75, 0xb8b4, v234
	v_fmac_f16_e64 v72, 0x38b4, v234
	;; [unrolled: 1-line block ×3, first 2 shown]
	s_delay_alu instid0(VALU_DEP_3) | instskip(NEXT) | instid1(VALU_DEP_3)
	v_fmac_f16_e32 v75, 0x34f2, v10
	v_fmac_f16_e32 v72, 0x34f2, v10
	v_add_f16_e32 v10, v74, v30
	v_fma_f16 v30, 0xbb9c, v226, v73
	v_fmac_f16_e64 v73, 0x3b9c, v226
	s_delay_alu instid0(VALU_DEP_2) | instskip(NEXT) | instid1(VALU_DEP_2)
	v_fmac_f16_e64 v30, 0x38b4, v231
	v_fmac_f16_e64 v73, 0xb8b4, v231
	s_delay_alu instid0(VALU_DEP_2) | instskip(NEXT) | instid1(VALU_DEP_2)
	v_fmac_f16_e32 v30, 0x34f2, v10
	v_fmac_f16_e32 v73, 0x34f2, v10
	s_delay_alu instid0(VALU_DEP_2) | instskip(SKIP_1) | instid1(VALU_DEP_3)
	v_mul_f16_e32 v10, 0xbb9c, v30
	v_mul_f16_e32 v30, 0x34f2, v30
	;; [unrolled: 1-line block ×4, first 2 shown]
	s_delay_alu instid0(VALU_DEP_4) | instskip(NEXT) | instid1(VALU_DEP_4)
	v_fmac_f16_e32 v10, 0x34f2, v75
	v_fmac_f16_e32 v30, 0x3b9c, v75
	s_delay_alu instid0(VALU_DEP_4) | instskip(NEXT) | instid1(VALU_DEP_4)
	v_fmac_f16_e32 v74, 0xb4f2, v72
	v_fmac_f16_e32 v73, 0x3b9c, v72
	s_delay_alu instid0(VALU_DEP_4) | instskip(NEXT) | instid1(VALU_DEP_4)
	v_add_f16_e32 v72, v77, v10
	v_add_f16_e32 v75, v90, v30
	v_sub_f16_e32 v10, v77, v10
	s_delay_alu instid0(VALU_DEP_4)
	v_add_f16_e64 v76, v247, v73
	v_sub_f16_e32 v30, v90, v30
	v_sub_f16_e64 v77, v78, v166
	v_pack_b32_f16 v72, v72, v75
	v_add_f16_e32 v75, v0, v74
	v_sub_f16_e32 v0, v0, v74
	v_pack_b32_f16 v10, v10, v30
	v_sub_f16_e64 v90, v169, v161
	s_delay_alu instid0(VALU_DEP_4)
	v_pack_b32_f16 v75, v75, v76
	v_add_f16_e32 v76, v15, v12
	ds_store_2addr_b32 v173, v72, v75 offset0:20 offset1:30
	v_sub_f16_e32 v72, v83, v85
	v_add_f16_e32 v75, v11, v3
	v_sub_f16_e32 v3, v11, v3
	v_sub_f16_e32 v11, v15, v12
	v_add_f16_e32 v12, v1, v68
	v_pack_b32_f16 v14, v14, v72
	v_pack_b32_f16 v75, v75, v76
	v_add_f16_e32 v15, v66, v71
	v_pack_b32_f16 v3, v3, v11
	v_lshrrev_b32_e32 v11, 16, v1
	v_sub_f16_e32 v76, v45, v31
	ds_store_2addr_b32 v173, v75, v14 offset0:40 offset1:50
	v_sub_f16_e64 v14, v87, v253
	v_add_f16_e64 v15, v15, v167
	v_add_f16_e32 v12, v12, v69
	s_delay_alu instid0(VALU_DEP_3) | instskip(NEXT) | instid1(VALU_DEP_3)
	v_pack_b32_f16 v13, v13, v14
	v_add_f16_e64 v15, v15, v202
	s_delay_alu instid0(VALU_DEP_3)
	v_add_f16_e64 v12, v12, v161
	ds_store_2addr_b32 v173, v13, v10 offset0:60 offset1:70
	v_sub_f16_e64 v10, v247, v73
	v_sub_f16_e64 v13, v161, v169
	v_add_f16_e32 v73, v67, v70
	v_add_f16_e64 v12, v12, v169
	s_delay_alu instid0(VALU_DEP_4) | instskip(SKIP_3) | instid1(VALU_DEP_2)
	v_pack_b32_f16 v0, v0, v10
	ds_store_2addr_b32 v173, v0, v3 offset0:80 offset1:90
	v_lshrrev_b32_e32 v0, 16, v8
	v_mul_f16_e64 v3, v168, v8
	v_mul_f16_e64 v10, v168, v0
	s_delay_alu instid0(VALU_DEP_2) | instskip(SKIP_1) | instid1(VALU_DEP_3)
	v_fma_f16 v0, v165, v0, -v3
	v_add_f16_e64 v3, v69, v161
	v_fmac_f16_e64 v10, v165, v8
	v_add_f16_e64 v8, v68, v169
	s_delay_alu instid0(VALU_DEP_3)
	v_fma_f16 v3, -0.5, v3, v1
	v_add_f16_e32 v72, v70, v0
	v_sub_f16_e64 v74, v166, v0
	v_add_f16_e32 v14, v71, v10
	v_fmac_f16_e32 v1, -0.5, v8
	v_sub_f16_e32 v8, v69, v68
	v_sub_f16_e64 v30, v202, v10
	v_sub_f16_e32 v86, v71, v10
	v_sub_f16_e32 v87, v70, v0
	v_fmamk_f16 v93, v76, 0xbb9c, v3
	v_add_f16_e32 v8, v8, v13
	v_add_f16_e64 v13, v167, v202
	v_fmac_f16_e32 v3, 0x3b9c, v76
	s_delay_alu instid0(VALU_DEP_2) | instskip(SKIP_3) | instid1(VALU_DEP_3)
	v_fma_f16 v13, -0.5, v13, v66
	v_fmac_f16_e32 v66, -0.5, v14
	v_sub_f16_e64 v14, v167, v71
	v_sub_f16_e64 v71, v71, v167
	v_fmamk_f16 v83, v77, 0x3b9c, v66
	s_delay_alu instid0(VALU_DEP_3) | instskip(SKIP_2) | instid1(VALU_DEP_4)
	v_add_f16_e32 v14, v14, v30
	v_add_f16_e64 v30, v78, v166
	v_fmac_f16_e32 v66, 0xbb9c, v77
	v_fmac_f16_e32 v83, 0xb8b4, v87
	s_delay_alu instid0(VALU_DEP_3)
	v_fma_f16 v30, -0.5, v30, v67
	v_fmac_f16_e32 v67, -0.5, v72
	v_sub_f16_e32 v72, v78, v70
	v_fmac_f16_e32 v66, 0x38b4, v87
	v_sub_f16_e32 v70, v70, v78
	v_fmac_f16_e32 v83, 0x34f2, v14
	v_fmamk_f16 v85, v84, 0xbb9c, v67
	v_fmac_f16_e32 v67, 0x3b9c, v84
	v_add_f16_e32 v72, v72, v74
	v_sub_f16_e32 v74, v47, v46
	v_fmac_f16_e32 v66, 0x34f2, v14
	v_fmac_f16_e32 v85, 0x38b4, v86
	;; [unrolled: 1-line block ×3, first 2 shown]
	s_delay_alu instid0(VALU_DEP_4) | instskip(SKIP_2) | instid1(VALU_DEP_4)
	v_fmamk_f16 v75, v74, 0x3b9c, v1
	v_fmac_f16_e32 v1, 0xbb9c, v74
	v_fmac_f16_e32 v93, 0xb8b4, v74
	;; [unrolled: 1-line block ×7, first 2 shown]
	v_mul_f16_e32 v88, 0xbb9c, v67
	s_delay_alu instid0(VALU_DEP_4) | instskip(NEXT) | instid1(VALU_DEP_4)
	v_fmac_f16_e32 v75, 0x34f2, v8
	v_fmac_f16_e32 v1, 0x34f2, v8
	s_delay_alu instid0(VALU_DEP_4) | instskip(NEXT) | instid1(VALU_DEP_4)
	v_mul_f16_e32 v14, 0x34f2, v85
	v_fmac_f16_e32 v88, 0xb4f2, v66
	s_delay_alu instid0(VALU_DEP_2) | instskip(NEXT) | instid1(VALU_DEP_2)
	v_fmac_f16_e32 v14, 0x3b9c, v83
	v_add_f16_e32 v89, v1, v88
	v_sub_f16_e32 v1, v1, v88
	v_sub_f16_e32 v88, v68, v69
	v_sub_f16_e64 v68, v68, v169
	v_sub_f16_e64 v69, v69, v161
	s_delay_alu instid0(VALU_DEP_3) | instskip(SKIP_1) | instid1(VALU_DEP_2)
	v_add_f16_e32 v88, v88, v90
	v_sub_f16_e32 v90, v45, v47
	v_fmac_f16_e32 v93, 0x34f2, v88
	s_delay_alu instid0(VALU_DEP_2) | instskip(SKIP_3) | instid1(VALU_DEP_3)
	v_add_f16_e32 v90, v90, v91
	v_sub_f16_e64 v91, v10, v202
	v_add_f16_e32 v10, v15, v10
	v_fmac_f16_e32 v3, 0x34f2, v88
	v_add_f16_e32 v15, v71, v91
	v_add_f16_e32 v71, v73, v78
	v_sub_f16_e64 v73, v0, v166
	v_add_f16_e32 v91, v12, v10
	v_sub_f16_e32 v10, v12, v10
	s_delay_alu instid0(VALU_DEP_4) | instskip(NEXT) | instid1(VALU_DEP_4)
	v_add_f16_e64 v71, v71, v166
	v_add_f16_e32 v70, v70, v73
	v_fmamk_f16 v73, v87, 0xbb9c, v13
	v_fmac_f16_e32 v13, 0x3b9c, v87
	s_delay_alu instid0(VALU_DEP_4) | instskip(SKIP_1) | instid1(VALU_DEP_4)
	v_add_f16_e32 v0, v71, v0
	v_fmamk_f16 v71, v86, 0x3b9c, v30
	v_fmac_f16_e32 v73, 0xb8b4, v77
	v_fmac_f16_e32 v30, 0xbb9c, v86
	;; [unrolled: 1-line block ×3, first 2 shown]
	s_delay_alu instid0(VALU_DEP_4) | instskip(NEXT) | instid1(VALU_DEP_4)
	v_fmac_f16_e32 v71, 0x38b4, v84
	v_fmac_f16_e32 v73, 0x34f2, v15
	s_delay_alu instid0(VALU_DEP_4) | instskip(NEXT) | instid1(VALU_DEP_4)
	v_fmac_f16_e32 v30, 0xb8b4, v84
	v_fmac_f16_e32 v13, 0x34f2, v15
	s_delay_alu instid0(VALU_DEP_4) | instskip(NEXT) | instid1(VALU_DEP_3)
	v_fmac_f16_e32 v71, 0x34f2, v70
	v_fmac_f16_e32 v30, 0x34f2, v70
	s_delay_alu instid0(VALU_DEP_2) | instskip(SKIP_1) | instid1(VALU_DEP_3)
	v_mul_f16_e32 v78, 0xb8b4, v71
	v_mul_f16_e32 v71, 0x3a79, v71
	;; [unrolled: 1-line block ×4, first 2 shown]
	s_delay_alu instid0(VALU_DEP_4) | instskip(NEXT) | instid1(VALU_DEP_4)
	v_fmac_f16_e32 v78, 0x3a79, v73
	v_fmac_f16_e32 v71, 0x38b4, v73
	v_add_f16_e32 v73, v11, v45
	v_fmac_f16_e32 v15, 0xba79, v13
	v_fmac_f16_e32 v30, 0x38b4, v13
	v_add_f16_e32 v95, v93, v78
	s_delay_alu instid0(VALU_DEP_4) | instskip(NEXT) | instid1(VALU_DEP_4)
	v_add_f16_e32 v73, v73, v47
	v_add_f16_e32 v12, v3, v15
	s_delay_alu instid0(VALU_DEP_2) | instskip(NEXT) | instid1(VALU_DEP_1)
	v_add_f16_e32 v73, v73, v46
	v_add_f16_e32 v73, v73, v31
	s_delay_alu instid0(VALU_DEP_1) | instskip(SKIP_2) | instid1(VALU_DEP_3)
	v_add_f16_e32 v92, v73, v0
	v_sub_f16_e32 v0, v73, v0
	v_sub_f16_e32 v73, v29, v19
	v_pack_b32_f16 v91, v91, v92
	v_add_f16_e32 v92, v47, v46
	s_delay_alu instid0(VALU_DEP_4) | instskip(NEXT) | instid1(VALU_DEP_2)
	v_pack_b32_f16 v0, v10, v0
	v_fma_f16 v92, -0.5, v92, v11
	s_delay_alu instid0(VALU_DEP_1) | instskip(SKIP_1) | instid1(VALU_DEP_2)
	v_fmamk_f16 v94, v68, 0x3b9c, v92
	v_fmac_f16_e32 v92, 0xbb9c, v68
	v_fmac_f16_e32 v94, 0x38b4, v69
	s_delay_alu instid0(VALU_DEP_2) | instskip(NEXT) | instid1(VALU_DEP_2)
	v_fmac_f16_e32 v92, 0xb8b4, v69
	v_fmac_f16_e32 v94, 0x34f2, v90
	s_delay_alu instid0(VALU_DEP_2) | instskip(NEXT) | instid1(VALU_DEP_2)
	v_fmac_f16_e32 v92, 0x34f2, v90
	v_add_f16_e32 v96, v94, v71
	s_delay_alu instid0(VALU_DEP_2) | instskip(SKIP_1) | instid1(VALU_DEP_3)
	v_add_f16_e32 v13, v92, v30
	v_sub_f16_e32 v10, v94, v71
	v_pack_b32_f16 v95, v95, v96
	s_delay_alu instid0(VALU_DEP_3)
	v_pack_b32_f16 v12, v12, v13
	v_add_f16_e32 v13, v32, v34
	ds_store_2addr_b32 v172, v91, v95 offset1:10
	v_add_f16_e32 v91, v45, v31
	v_sub_f16_e32 v45, v47, v45
	v_sub_f16_e32 v31, v46, v31
	ds_store_2addr_b32 v172, v12, v0 offset0:40 offset1:50
	v_sub_f16_e32 v0, v93, v78
	v_fmac_f16_e32 v11, -0.5, v91
	v_add_f16_e32 v13, v13, v16
	v_add_f16_e32 v8, v45, v31
	v_mul_f16_e32 v45, 0xb4f2, v67
	v_pack_b32_f16 v0, v0, v10
	v_fmamk_f16 v31, v69, 0xbb9c, v11
	v_fmac_f16_e32 v11, 0x3b9c, v69
	v_add_f16_e32 v10, v65, v33
	v_fmac_f16_e32 v45, 0x3b9c, v66
	v_sub_f16_e32 v67, v16, v17
	v_fmac_f16_e32 v31, 0x38b4, v68
	v_fmac_f16_e32 v11, 0xb8b4, v68
	v_add_f16_e32 v13, v13, v17
	v_add_f16_e32 v10, v10, v44
	s_delay_alu instid0(VALU_DEP_4) | instskip(NEXT) | instid1(VALU_DEP_4)
	v_fmac_f16_e32 v31, 0x34f2, v8
	v_fmac_f16_e32 v11, 0x34f2, v8
	v_mul_f16_e32 v8, 0xbb9c, v85
	s_delay_alu instid0(VALU_DEP_4) | instskip(NEXT) | instid1(VALU_DEP_4)
	v_add_f16_e32 v10, v10, v19
	v_sub_f16_e32 v12, v31, v14
	v_add_f16_e32 v47, v31, v14
	s_delay_alu instid0(VALU_DEP_4) | instskip(NEXT) | instid1(VALU_DEP_4)
	v_fmac_f16_e32 v8, 0x34f2, v83
	v_add_f16_e32 v10, v10, v29
	s_delay_alu instid0(VALU_DEP_2) | instskip(SKIP_1) | instid1(VALU_DEP_2)
	v_add_f16_e32 v46, v75, v8
	v_sub_f16_e32 v8, v75, v8
	v_pack_b32_f16 v46, v46, v47
	s_delay_alu instid0(VALU_DEP_2)
	v_pack_b32_f16 v8, v8, v12
	v_add_f16_e32 v47, v11, v45
	ds_store_2addr_b32 v172, v0, v8 offset0:60 offset1:70
	v_sub_f16_e32 v0, v3, v15
	v_sub_f16_e32 v3, v11, v45
	;; [unrolled: 1-line block ×4, first 2 shown]
	v_add_f16_e32 v30, v4, v35
	v_pack_b32_f16 v47, v89, v47
	v_pack_b32_f16 v1, v1, v3
	;; [unrolled: 1-line block ×3, first 2 shown]
	v_lshrrev_b32_e32 v3, 16, v158
	v_add_f16_e32 v8, v33, v29
	ds_store_2addr_b32 v172, v46, v47 offset0:20 offset1:30
	v_sub_f16_e32 v47, v18, v28
	ds_store_2addr_b32 v172, v1, v0 offset0:80 offset1:90
	v_lshrrev_b32_e32 v0, 16, v9
	v_sub_f16_e32 v46, v5, v2
	v_sub_f16_e32 v29, v33, v29
	s_delay_alu instid0(VALU_DEP_3) | instskip(SKIP_1) | instid1(VALU_DEP_2)
	v_mul_f16_e32 v1, v3, v0
	v_mul_f16_e32 v3, v3, v9
	v_fmac_f16_e64 v1, v158, v9
	s_delay_alu instid0(VALU_DEP_2)
	v_fma_f16 v0, v158, v0, -v3
	v_add_f16_e32 v3, v44, v19
	v_lshrrev_b32_e32 v9, 16, v65
	v_sub_f16_e32 v19, v44, v19
	v_add_f16_e32 v12, v34, v1
	v_sub_f16_e32 v14, v17, v1
	v_fma_f16 v3, -0.5, v3, v65
	v_fmac_f16_e32 v65, -0.5, v8
	v_sub_f16_e32 v8, v44, v33
	v_add_f16_e32 v15, v35, v0
	v_sub_f16_e32 v69, v34, v1
	v_sub_f16_e32 v31, v28, v0
	;; [unrolled: 1-line block ×3, first 2 shown]
	v_add_f16_e32 v8, v8, v11
	v_add_f16_e32 v11, v16, v17
	v_sub_f16_e32 v17, v1, v17
	v_add_f16_e32 v1, v13, v1
	s_delay_alu instid0(VALU_DEP_3) | instskip(SKIP_3) | instid1(VALU_DEP_3)
	v_fma_f16 v11, -0.5, v11, v32
	v_fmac_f16_e32 v32, -0.5, v12
	v_sub_f16_e32 v12, v16, v34
	v_sub_f16_e32 v16, v34, v16
	v_fmamk_f16 v66, v47, 0x3b9c, v32
	s_delay_alu instid0(VALU_DEP_3) | instskip(SKIP_1) | instid1(VALU_DEP_4)
	v_add_f16_e32 v12, v12, v14
	v_add_f16_e32 v14, v18, v28
	;; [unrolled: 1-line block ×4, first 2 shown]
	v_sub_f16_e32 v17, v35, v18
	v_fmac_f16_e32 v32, 0xbb9c, v47
	v_fma_f16 v14, -0.5, v14, v4
	v_fmac_f16_e32 v4, -0.5, v15
	v_sub_f16_e32 v15, v18, v35
	v_add_f16_e32 v16, v16, v28
	v_sub_f16_e32 v18, v0, v28
	v_fmac_f16_e32 v32, 0x38b4, v70
	v_fmamk_f16 v68, v67, 0xbb9c, v4
	v_fmac_f16_e32 v4, 0x3b9c, v67
	v_add_f16_e32 v0, v16, v0
	v_add_f16_e32 v16, v17, v18
	v_fmamk_f16 v17, v69, 0x3b9c, v14
	v_fmamk_f16 v18, v70, 0xbb9c, v11
	v_add_f16_e32 v15, v15, v31
	v_sub_f16_e32 v31, v6, v7
	v_fmac_f16_e32 v4, 0xb8b4, v69
	v_fmac_f16_e32 v17, 0x38b4, v67
	;; [unrolled: 1-line block ×4, first 2 shown]
	v_fmamk_f16 v45, v31, 0x3b9c, v65
	v_fmac_f16_e32 v65, 0xbb9c, v31
	v_fmac_f16_e32 v17, 0x34f2, v16
	;; [unrolled: 1-line block ×4, first 2 shown]
	v_add_f16_e32 v30, v10, v1
	v_fmac_f16_e32 v65, 0x38b4, v46
	v_mul_f16_e32 v28, 0xb8b4, v17
	v_mul_f16_e32 v17, 0x3a79, v17
	;; [unrolled: 1-line block ×3, first 2 shown]
	v_fmamk_f16 v35, v46, 0xbb9c, v3
	v_fmac_f16_e32 v65, 0x34f2, v8
	v_fmac_f16_e32 v28, 0x3a79, v18
	;; [unrolled: 1-line block ×3, first 2 shown]
	v_add_f16_e32 v18, v9, v5
	v_fmac_f16_e32 v71, 0xb4f2, v32
	v_fmac_f16_e32 v35, 0xb8b4, v31
	;; [unrolled: 1-line block ×4, first 2 shown]
	v_add_f16_e32 v18, v18, v6
	v_add_f16_e32 v72, v65, v71
	v_sub_f16_e32 v65, v65, v71
	v_sub_f16_e32 v71, v33, v44
	v_sub_f16_e32 v33, v5, v6
	v_add_f16_e32 v18, v18, v7
	v_sub_f16_e32 v44, v2, v7
	v_fmac_f16_e32 v68, 0x34f2, v15
	v_add_f16_e32 v71, v71, v73
	v_fmac_f16_e32 v45, 0xb8b4, v46
	v_add_f16_e32 v18, v18, v2
	v_add_f16_e32 v33, v33, v44
	v_fmac_f16_e32 v66, 0x34f2, v12
	v_fmac_f16_e32 v35, 0x34f2, v71
	;; [unrolled: 1-line block ×3, first 2 shown]
	v_add_f16_e32 v34, v18, v0
	v_mul_f16_e32 v4, 0xb4f2, v4
	v_fmac_f16_e32 v14, 0xbb9c, v69
	v_add_f16_e32 v73, v35, v28
	v_fmac_f16_e32 v11, 0x3b9c, v70
	v_pack_b32_f16 v30, v30, v34
	v_add_f16_e32 v34, v6, v7
	v_fmac_f16_e32 v4, 0x3b9c, v32
	v_fmac_f16_e32 v14, 0xb8b4, v67
	;; [unrolled: 1-line block ×4, first 2 shown]
	v_fma_f16 v34, -0.5, v34, v9
	v_sub_f16_e32 v1, v10, v1
	v_fmac_f16_e32 v14, 0x34f2, v16
	v_fmac_f16_e32 v3, 0x38b4, v31
	;; [unrolled: 1-line block ×3, first 2 shown]
	v_fmamk_f16 v44, v29, 0x3b9c, v34
	v_fmac_f16_e32 v34, 0xbb9c, v29
	v_sub_f16_e32 v0, v18, v0
	v_fmac_f16_e32 v3, 0x34f2, v71
	s_delay_alu instid0(VALU_DEP_4) | instskip(NEXT) | instid1(VALU_DEP_4)
	v_fmac_f16_e32 v44, 0x38b4, v19
	v_fmac_f16_e32 v34, 0xb8b4, v19
	s_delay_alu instid0(VALU_DEP_4) | instskip(NEXT) | instid1(VALU_DEP_3)
	v_pack_b32_f16 v0, v1, v0
	v_fmac_f16_e32 v44, 0x34f2, v33
	s_delay_alu instid0(VALU_DEP_3) | instskip(NEXT) | instid1(VALU_DEP_2)
	v_fmac_f16_e32 v34, 0x34f2, v33
	v_add_f16_e32 v74, v44, v17
	s_delay_alu instid0(VALU_DEP_1)
	v_pack_b32_f16 v73, v73, v74
	ds_store_2addr_b32 v171, v30, v73 offset1:10
	v_add_f16_e32 v30, v5, v2
	v_sub_f16_e32 v5, v6, v5
	v_sub_f16_e32 v2, v7, v2
	v_mul_f16_e32 v6, 0x34f2, v68
	s_delay_alu instid0(VALU_DEP_4) | instskip(NEXT) | instid1(VALU_DEP_3)
	v_fmac_f16_e32 v9, -0.5, v30
	v_add_f16_e32 v2, v5, v2
	s_delay_alu instid0(VALU_DEP_3) | instskip(NEXT) | instid1(VALU_DEP_3)
	v_fmac_f16_e32 v6, 0x3b9c, v66
	v_fmamk_f16 v5, v19, 0xbb9c, v9
	v_fmac_f16_e32 v9, 0x3b9c, v19
	s_delay_alu instid0(VALU_DEP_2) | instskip(NEXT) | instid1(VALU_DEP_2)
	v_fmac_f16_e32 v5, 0x38b4, v29
	v_fmac_f16_e32 v9, 0xb8b4, v29
	s_delay_alu instid0(VALU_DEP_2) | instskip(NEXT) | instid1(VALU_DEP_2)
	v_fmac_f16_e32 v5, 0x34f2, v2
	v_fmac_f16_e32 v9, 0x34f2, v2
	v_mul_f16_e32 v2, 0xbb9c, v68
	s_delay_alu instid0(VALU_DEP_3) | instskip(SKIP_1) | instid1(VALU_DEP_3)
	v_add_f16_e32 v8, v5, v6
	v_sub_f16_e32 v5, v5, v6
	v_fmac_f16_e32 v2, 0x34f2, v66
	s_delay_alu instid0(VALU_DEP_1) | instskip(SKIP_2) | instid1(VALU_DEP_3)
	v_add_f16_e32 v7, v45, v2
	v_sub_f16_e32 v1, v45, v2
	v_sub_f16_e32 v2, v44, v17
	v_pack_b32_f16 v7, v7, v8
	v_add_f16_e32 v8, v9, v4
	s_delay_alu instid0(VALU_DEP_4) | instskip(NEXT) | instid1(VALU_DEP_2)
	v_pack_b32_f16 v1, v1, v5
	v_pack_b32_f16 v8, v72, v8
	ds_store_2addr_b32 v171, v7, v8 offset0:20 offset1:30
	v_mul_f16_e32 v7, 0xb8b4, v14
	v_mul_f16_e32 v8, 0xba79, v14
	s_delay_alu instid0(VALU_DEP_2) | instskip(NEXT) | instid1(VALU_DEP_2)
	v_fmac_f16_e32 v7, 0xba79, v11
	v_fmac_f16_e32 v8, 0x38b4, v11
	s_delay_alu instid0(VALU_DEP_2) | instskip(NEXT) | instid1(VALU_DEP_2)
	v_add_f16_e32 v10, v3, v7
	v_add_f16_e32 v11, v34, v8
	s_delay_alu instid0(VALU_DEP_1) | instskip(SKIP_2) | instid1(VALU_DEP_1)
	v_pack_b32_f16 v10, v10, v11
	ds_store_2addr_b32 v171, v10, v0 offset0:40 offset1:50
	v_sub_f16_e32 v0, v35, v28
	v_pack_b32_f16 v0, v0, v2
	v_sub_f16_e32 v2, v34, v8
	ds_store_2addr_b32 v171, v0, v1 offset0:60 offset1:70
	v_sub_f16_e32 v0, v3, v7
	v_sub_f16_e32 v1, v9, v4
	s_delay_alu instid0(VALU_DEP_2) | instskip(NEXT) | instid1(VALU_DEP_2)
	v_pack_b32_f16 v0, v0, v2
	v_pack_b32_f16 v1, v65, v1
	ds_store_2addr_b32 v171, v1, v0 offset0:80 offset1:90
	global_wb scope:SCOPE_SE
	s_wait_dscnt 0x0
	s_barrier_signal -1
	s_barrier_wait -1
	global_inv scope:SCOPE_SE
	ds_load_2addr_b32 v[0:1], v115 offset0:96 offset1:216
	s_wait_dscnt 0x0
	v_lshrrev_b32_e32 v2, 16, v1
	v_mul_f16_e64 v3, v223, v1
	s_delay_alu instid0(VALU_DEP_2) | instskip(NEXT) | instid1(VALU_DEP_2)
	v_mul_f16_e64 v30, v223, v2
	v_fma_f16 v32, v20, v2, -v3
	ds_load_2addr_b32 v[2:3], v114 offset0:48 offset1:168
	v_fmac_f16_e32 v30, v20, v1
	s_wait_dscnt 0x0
	v_lshrrev_b32_e32 v4, 16, v2
	v_mul_f16_e64 v5, v229, v2
	s_delay_alu instid0(VALU_DEP_2) | instskip(NEXT) | instid1(VALU_DEP_2)
	v_mul_f16_e64 v11, v229, v4
	v_fma_f16 v12, v21, v4, -v5
	ds_load_2addr_b32 v[4:5], v120 offset0:16 offset1:136
	v_fmac_f16_e32 v11, v21, v2
	ds_load_2addr_b32 v[1:2], v152 offset0:80 offset1:200
	s_wait_dscnt 0x1
	v_lshrrev_b32_e32 v6, 16, v5
	v_mul_f16_e64 v7, v225, v5
	s_delay_alu instid0(VALU_DEP_2) | instskip(NEXT) | instid1(VALU_DEP_2)
	v_mul_f16_e64 v13, v225, v6
	v_fma_f16 v14, v22, v6, -v7
	ds_load_2addr_b32 v[6:7], v133 offset0:96 offset1:216
	v_fmac_f16_e32 v13, v22, v5
	v_lshrrev_b32_e32 v5, 16, v3
	s_delay_alu instid0(VALU_DEP_1) | instskip(NEXT) | instid1(VALU_DEP_1)
	v_mul_f16_e64 v34, v224, v5
	v_fmac_f16_e32 v34, v25, v3
	v_mul_f16_e64 v3, v224, v3
	s_wait_dscnt 0x0
	v_lshrrev_b32_e32 v8, 16, v6
	v_mul_f16_e64 v9, v230, v6
	s_delay_alu instid0(VALU_DEP_3) | instskip(NEXT) | instid1(VALU_DEP_3)
	v_fma_f16 v47, v25, v5, -v3
	v_mul_f16_e64 v15, v230, v8
	s_delay_alu instid0(VALU_DEP_3) | instskip(SKIP_2) | instid1(VALU_DEP_4)
	v_fma_f16 v46, v23, v8, -v9
	v_mul_f16_e64 v9, v232, v1
	v_lshrrev_b32_e32 v8, 16, v7
	v_fmac_f16_e32 v15, v23, v6
	v_lshrrev_b32_e32 v6, 16, v1
	s_delay_alu instid0(VALU_DEP_3) | instskip(NEXT) | instid1(VALU_DEP_2)
	v_mul_f16_e64 v45, v222, v8
	v_mul_f16_e64 v28, v232, v6
	v_fma_f16 v29, v24, v6, -v9
	ds_load_2addr_b32 v[5:6], v125 offset0:128 offset1:248
	v_fmac_f16_e32 v45, v27, v7
	v_mul_f16_e64 v7, v222, v7
	v_fmac_f16_e32 v28, v24, v1
	v_lshrrev_b32_e32 v1, 16, v2
	s_delay_alu instid0(VALU_DEP_3) | instskip(NEXT) | instid1(VALU_DEP_2)
	v_fma_f16 v67, v27, v8, -v7
	v_mul_f16_e64 v24, v146, v1
	s_delay_alu instid0(VALU_DEP_1) | instskip(SKIP_1) | instid1(VALU_DEP_1)
	v_fmac_f16_e32 v24, v52, v2
	v_mul_f16_e64 v2, v146, v2
	v_fma_f16 v25, v52, v1, -v2
	ds_load_2addr_b32 v[1:2], v140 offset0:32 offset1:152
	s_wait_dscnt 0x1
	v_lshrrev_b32_e32 v3, 16, v5
	v_mul_f16_e64 v9, v227, v5
	v_add_f16_e32 v52, v12, v46
	s_delay_alu instid0(VALU_DEP_3) | instskip(NEXT) | instid1(VALU_DEP_3)
	v_mul_f16_e64 v65, v227, v3
	v_fma_f16 v66, v26, v3, -v9
	v_lshrrev_b32_e32 v3, 16, v6
	s_delay_alu instid0(VALU_DEP_3) | instskip(SKIP_1) | instid1(VALU_DEP_3)
	v_fmac_f16_e32 v65, v26, v5
	v_mul_f16_e32 v5, v121, v6
	v_mul_f16_e32 v26, v121, v3
	s_delay_alu instid0(VALU_DEP_2) | instskip(NEXT) | instid1(VALU_DEP_2)
	v_fma_f16 v27, v54, v3, -v5
	v_fmac_f16_e32 v26, v54, v6
	s_wait_dscnt 0x0
	v_lshrrev_b32_e32 v6, 16, v1
	v_mul_f16_e64 v7, v183, v1
	s_delay_alu instid0(VALU_DEP_2) | instskip(NEXT) | instid1(VALU_DEP_2)
	v_mul_f16_e64 v31, v183, v6
	v_fma_f16 v33, v53, v6, -v7
	ds_load_2addr_b32 v[5:6], v107 offset0:80 offset1:200
	v_fmac_f16_e32 v31, v53, v1
	v_sub_f16_e32 v53, v12, v46
	s_wait_dscnt 0x0
	v_lshrrev_b32_e32 v3, 16, v5
	v_mul_f16_e64 v7, v187, v5
	v_mul_f16_e32 v8, v108, v6
	s_delay_alu instid0(VALU_DEP_3) | instskip(NEXT) | instid1(VALU_DEP_3)
	v_mul_f16_e64 v35, v187, v3
	v_fma_f16 v44, v55, v3, -v7
	v_lshrrev_b32_e32 v3, 16, v2
	v_lshrrev_b32_e32 v7, 16, v6
	s_delay_alu instid0(VALU_DEP_4) | instskip(SKIP_1) | instid1(VALU_DEP_4)
	v_fmac_f16_e32 v35, v55, v5
	v_mul_f16_e32 v5, v99, v2
	v_mul_f16_e32 v18, v99, v3
	s_delay_alu instid0(VALU_DEP_4)
	v_mul_f16_e32 v19, v108, v7
	v_fma_f16 v23, v39, v7, -v8
	v_lshrrev_b32_e32 v7, 16, v4
	v_fma_f16 v20, v37, v3, -v5
	v_fmac_f16_e32 v18, v37, v2
	ds_load_2addr_b32 v[1:2], v153 offset0:64 offset1:184
	v_fmac_f16_e32 v19, v39, v6
	v_mul_f16_e32 v8, v102, v4
	s_wait_dscnt 0x0
	v_lshrrev_b32_e32 v6, 16, v1
	v_mul_f16_e64 v9, v252, v1
	s_delay_alu instid0(VALU_DEP_2) | instskip(NEXT) | instid1(VALU_DEP_2)
	v_mul_f16_e64 v16, v252, v6
	v_fma_f16 v17, v36, v6, -v9
	ds_load_2addr_b32 v[5:6], v139 offset0:112 offset1:232
	v_fmac_f16_e32 v16, v36, v1
	s_wait_dscnt 0x0
	v_lshrrev_b32_e32 v3, 16, v5
	v_mul_f16_e32 v9, v64, v5
	v_mul_f16_e64 v10, v208, v6
	s_delay_alu instid0(VALU_DEP_3) | instskip(NEXT) | instid1(VALU_DEP_3)
	v_mul_f16_e32 v22, v64, v3
	v_fma_f16 v21, v38, v3, -v9
	v_mul_f16_e32 v3, v102, v7
	v_lshrrev_b32_e32 v9, 16, v6
	s_delay_alu instid0(VALU_DEP_4) | instskip(SKIP_1) | instid1(VALU_DEP_4)
	v_fmac_f16_e32 v22, v38, v5
	v_lshrrev_b32_e32 v5, 16, v2
	v_fmac_f16_e64 v3, v179, v4
	s_delay_alu instid0(VALU_DEP_4) | instskip(NEXT) | instid1(VALU_DEP_3)
	v_mul_f16_e64 v4, v208, v9
	v_mul_f16_e64 v1, v210, v5
	s_delay_alu instid0(VALU_DEP_2) | instskip(SKIP_1) | instid1(VALU_DEP_3)
	v_fmac_f16_e64 v4, v180, v6
	v_fma_f16 v6, v179, v7, -v8
	v_fmac_f16_e64 v1, v178, v2
	v_mul_f16_e64 v2, v210, v2
	s_delay_alu instid0(VALU_DEP_1)
	v_fma_f16 v2, v178, v5, -v2
	v_fma_f16 v5, v180, v9, -v10
	ds_load_2addr_b32 v[9:10], v145 offset0:64 offset1:184
	s_wait_dscnt 0x0
	v_lshrrev_b32_e32 v7, 16, v9
	v_mul_f16_e32 v36, v103, v9
	v_mul_f16_e64 v37, v214, v10
	s_delay_alu instid0(VALU_DEP_3) | instskip(NEXT) | instid1(VALU_DEP_3)
	v_mul_f16_e32 v8, v103, v7
	v_fma_f16 v7, v181, v7, -v36
	s_delay_alu instid0(VALU_DEP_2) | instskip(SKIP_1) | instid1(VALU_DEP_1)
	v_fmac_f16_e64 v8, v181, v9
	v_lshrrev_b32_e32 v9, 16, v10
	v_mul_f16_e64 v36, v214, v9
	v_fma_f16 v37, v212, v9, -v37
	s_delay_alu instid0(VALU_DEP_2)
	v_fmac_f16_e64 v36, v212, v10
	ds_load_2addr_b32 v[9:10], v134 offset1:120
	v_add_f16_e32 v54, v13, v36
	v_sub_f16_e32 v55, v13, v36
	s_wait_dscnt 0x0
	v_lshrrev_b32_e32 v38, 16, v9
	s_delay_alu instid0(VALU_DEP_1) | instskip(SKIP_3) | instid1(VALU_DEP_4)
	v_add_f16_e32 v39, v38, v12
	v_add_f16_e32 v12, v9, v11
	v_fmac_f16_e32 v38, -0.5, v52
	v_add_f16_e32 v52, v32, v14
	v_add_f16_e32 v39, v39, v46
	s_delay_alu instid0(VALU_DEP_4) | instskip(SKIP_4) | instid1(VALU_DEP_4)
	v_add_f16_e32 v46, v12, v15
	v_add_f16_e32 v12, v11, v15
	v_sub_f16_e32 v15, v11, v15
	v_add_f16_e32 v11, v14, v37
	v_add_f16_e32 v52, v52, v37
	v_fma_f16 v9, -0.5, v12, v9
	s_delay_alu instid0(VALU_DEP_4) | instskip(NEXT) | instid1(VALU_DEP_4)
	v_fmamk_f16 v72, v15, 0x3aee, v38
	v_fmac_f16_e32 v32, -0.5, v11
	v_add_f16_e32 v11, v30, v13
	v_fmac_f16_e32 v30, -0.5, v54
	v_sub_f16_e32 v54, v14, v37
	v_add_f16_e32 v13, v39, v52
	v_fmamk_f16 v71, v53, 0xbaee, v9
	v_add_f16_e32 v64, v11, v36
	v_fmamk_f16 v11, v55, 0x3aee, v32
	v_fmac_f16_e32 v32, 0xbaee, v55
	v_fmac_f16_e32 v38, 0xbaee, v15
	v_sub_f16_e32 v39, v39, v52
	v_fmac_f16_e32 v9, 0x3aee, v53
	v_mul_f16_e32 v68, 0xbaee, v11
	v_mul_f16_e32 v69, 0.5, v11
	v_fmamk_f16 v11, v54, 0xbaee, v30
	v_fmac_f16_e32 v30, 0x3aee, v54
	v_mul_f16_e32 v15, 0xbaee, v32
	v_mul_f16_e32 v32, -0.5, v32
	s_delay_alu instid0(VALU_DEP_4)
	v_fmac_f16_e32 v68, 0.5, v11
	v_fmac_f16_e32 v69, 0x3aee, v11
	v_add_f16_e32 v11, v46, v64
	v_fmac_f16_e32 v15, -0.5, v30
	v_fmac_f16_e32 v32, 0x3aee, v30
	v_sub_f16_e32 v30, v46, v64
	v_add_f16_e32 v12, v72, v69
	v_pack_b32_f16 v70, v11, v13
	v_add_f16_e32 v11, v71, v68
	v_add_f16_e32 v46, v9, v15
	v_pack_b32_f16 v30, v30, v39
	v_add_f16_e32 v52, v38, v32
	v_sub_f16_e32 v9, v9, v15
	v_pack_b32_f16 v73, v11, v12
	ds_load_2addr_b32 v[11:12], v141 offset0:48 offset1:168
	ds_load_2addr_b32 v[13:14], v154 offset0:112 offset1:232
	;; [unrolled: 1-line block ×3, first 2 shown]
	global_wb scope:SCOPE_SE
	s_wait_dscnt 0x0
	s_barrier_signal -1
	s_barrier_wait -1
	global_inv scope:SCOPE_SE
	scratch_load_b32 v39, off, off offset:224 th:TH_LOAD_LU ; 4-byte Folded Reload
	v_pack_b32_f16 v46, v46, v52
	v_sub_f16_e32 v15, v72, v69
	v_sub_f16_e32 v32, v38, v32
	v_add_f16_e32 v38, v47, v67
	ds_store_2addr_b32 v193, v70, v73 offset1:100
	v_pack_b32_f16 v9, v9, v32
	v_add_f16_e32 v32, v10, v34
	s_delay_alu instid0(VALU_DEP_1) | instskip(SKIP_4) | instid1(VALU_DEP_2)
	v_add_f16_e32 v32, v32, v45
	s_wait_loadcnt 0x0
	ds_store_2addr_b32 v39, v46, v30 offset0:72 offset1:172
	v_sub_f16_e32 v30, v71, v68
	v_sub_f16_e32 v39, v47, v67
	v_pack_b32_f16 v15, v30, v15
	ds_store_2addr_b32 v184, v15, v9 offset0:144 offset1:244
	v_lshrrev_b32_e32 v9, 16, v11
	v_mul_f16_e32 v15, v104, v11
	s_delay_alu instid0(VALU_DEP_2) | instskip(NEXT) | instid1(VALU_DEP_2)
	v_mul_f16_e32 v30, v104, v9
	v_fma_f16 v9, v177, v9, -v15
	v_lshrrev_b32_e32 v15, 16, v10
	s_delay_alu instid0(VALU_DEP_3) | instskip(SKIP_3) | instid1(VALU_DEP_4)
	v_fmac_f16_e64 v30, v177, v11
	v_add_f16_e32 v11, v34, v45
	v_sub_f16_e32 v34, v34, v45
	v_add_f16_e32 v45, v29, v66
	v_add_f16_e32 v46, v65, v30
	s_delay_alu instid0(VALU_DEP_4) | instskip(SKIP_4) | instid1(VALU_DEP_4)
	v_fmac_f16_e32 v10, -0.5, v11
	v_add_f16_e32 v11, v15, v47
	v_fmac_f16_e32 v15, -0.5, v38
	v_add_f16_e32 v38, v66, v9
	v_sub_f16_e32 v47, v65, v30
	v_add_f16_e32 v11, v11, v67
	s_delay_alu instid0(VALU_DEP_4) | instskip(NEXT) | instid1(VALU_DEP_4)
	v_fmamk_f16 v54, v34, 0x3aee, v15
	v_fmac_f16_e32 v29, -0.5, v38
	v_add_f16_e32 v38, v28, v65
	v_fmac_f16_e32 v28, -0.5, v46
	v_fmac_f16_e32 v15, 0xbaee, v34
	s_delay_alu instid0(VALU_DEP_3) | instskip(SKIP_4) | instid1(VALU_DEP_4)
	v_add_f16_e32 v30, v38, v30
	v_sub_f16_e32 v38, v66, v9
	v_add_f16_e32 v9, v45, v9
	v_fmamk_f16 v45, v47, 0x3aee, v29
	v_fmac_f16_e32 v29, 0xbaee, v47
	v_fmamk_f16 v52, v38, 0xbaee, v28
	v_fmac_f16_e32 v28, 0x3aee, v38
	v_add_f16_e32 v53, v11, v9
	s_delay_alu instid0(VALU_DEP_4)
	v_mul_f16_e32 v34, 0xbaee, v29
	v_mul_f16_e32 v29, -0.5, v29
	v_sub_f16_e32 v9, v11, v9
	v_mul_f16_e32 v46, 0xbaee, v45
	v_mul_f16_e32 v45, 0.5, v45
	v_fmac_f16_e32 v34, -0.5, v28
	v_fmac_f16_e32 v29, 0x3aee, v28
	v_sub_f16_e32 v28, v32, v30
	v_fmac_f16_e32 v46, 0.5, v52
	v_fmac_f16_e32 v45, 0x3aee, v52
	v_add_f16_e32 v52, v32, v30
	v_add_f16_e32 v30, v15, v29
	v_pack_b32_f16 v9, v28, v9
	scratch_load_b32 v28, off, off offset:220 th:TH_LOAD_LU ; 4-byte Folded Reload
	v_sub_f16_e32 v15, v15, v29
	v_pack_b32_f16 v52, v52, v53
	v_fmamk_f16 v53, v39, 0xbaee, v10
	v_fmac_f16_e32 v10, 0x3aee, v39
	v_add_f16_e32 v29, v31, v35
	v_add_f16_e32 v32, v25, v27
	;; [unrolled: 1-line block ×5, first 2 shown]
	s_delay_alu instid0(VALU_DEP_2) | instskip(NEXT) | instid1(VALU_DEP_2)
	v_pack_b32_f16 v55, v55, v64
	v_pack_b32_f16 v11, v11, v30
	v_sub_f16_e32 v30, v31, v35
	ds_store_2addr_b32 v196, v52, v55 offset1:100
	s_wait_loadcnt 0x0
	ds_store_2addr_b32 v28, v11, v9 offset0:72 offset1:172
	v_sub_f16_e32 v9, v10, v34
	v_sub_f16_e32 v10, v53, v46
	;; [unrolled: 1-line block ×4, first 2 shown]
	s_delay_alu instid0(VALU_DEP_4) | instskip(SKIP_1) | instid1(VALU_DEP_4)
	v_pack_b32_f16 v9, v9, v15
	v_add_f16_e32 v15, v33, v44
	v_pack_b32_f16 v10, v10, v11
	v_mul_f16_e64 v11, v199, v12
	ds_store_2addr_b32 v188, v10, v9 offset0:144 offset1:244
	v_lshrrev_b32_e32 v9, 16, v12
	s_delay_alu instid0(VALU_DEP_1) | instskip(SKIP_2) | instid1(VALU_DEP_3)
	v_mul_f16_e64 v10, v199, v9
	v_fma_f16 v9, v185, v9, -v11
	v_lshrrev_b32_e32 v11, 16, v13
	v_fmac_f16_e64 v10, v185, v12
	s_delay_alu instid0(VALU_DEP_2)
	v_add_f16_e32 v12, v11, v33
	v_fmac_f16_e32 v11, -0.5, v15
	v_add_f16_e32 v15, v13, v31
	v_add_f16_e32 v31, v27, v9
	;; [unrolled: 1-line block ×3, first 2 shown]
	v_sub_f16_e32 v27, v27, v9
	v_add_f16_e32 v12, v12, v44
	v_add_f16_e32 v15, v15, v35
	v_fmac_f16_e32 v25, -0.5, v31
	v_add_f16_e32 v31, v24, v26
	v_sub_f16_e32 v26, v26, v10
	v_fmac_f16_e32 v24, -0.5, v33
	v_add_f16_e32 v9, v32, v9
	v_fma_f16 v13, -0.5, v29, v13
	v_add_f16_e32 v10, v31, v10
	v_fmamk_f16 v31, v26, 0x3aee, v25
	v_fmamk_f16 v33, v27, 0xbaee, v24
	v_fmac_f16_e32 v25, 0xbaee, v26
	v_add_f16_e32 v34, v12, v9
	v_fmac_f16_e32 v24, 0x3aee, v27
	v_mul_f16_e32 v32, 0xbaee, v31
	v_mul_f16_e32 v31, 0.5, v31
	v_mul_f16_e32 v26, 0xbaee, v25
	v_mul_f16_e32 v25, -0.5, v25
	v_fmamk_f16 v29, v28, 0xbaee, v13
	v_fmac_f16_e32 v32, 0.5, v33
	v_fmac_f16_e32 v31, 0x3aee, v33
	v_add_f16_e32 v33, v15, v10
	v_fmac_f16_e32 v13, 0x3aee, v28
	v_fmac_f16_e32 v26, -0.5, v24
	v_fmac_f16_e32 v25, 0x3aee, v24
	v_sub_f16_e32 v10, v15, v10
	v_pack_b32_f16 v33, v33, v34
	v_fmamk_f16 v34, v30, 0x3aee, v11
	v_fmac_f16_e32 v11, 0xbaee, v30
	v_sub_f16_e32 v9, v12, v9
	v_add_f16_e32 v12, v13, v26
	v_add_f16_e32 v24, v17, v21
	;; [unrolled: 1-line block ×4, first 2 shown]
	v_pack_b32_f16 v9, v10, v9
	v_sub_f16_e32 v10, v13, v26
	v_sub_f16_e32 v11, v11, v25
	v_add_f16_e32 v13, v14, v18
	v_pack_b32_f16 v12, v12, v15
	v_add_f16_e32 v15, v16, v22
	v_add_f16_e32 v38, v34, v31
	v_pack_b32_f16 v10, v10, v11
	scratch_load_b32 v11, off, off offset:216 th:TH_LOAD_LU ; 4-byte Folded Reload
	ds_store_2addr_b32 v198, v12, v9 offset0:72 offset1:172
	v_sub_f16_e32 v9, v29, v32
	v_sub_f16_e32 v12, v34, v31
	v_add_f16_e32 v13, v13, v19
	v_pack_b32_f16 v35, v35, v38
	s_delay_alu instid0(VALU_DEP_3)
	v_pack_b32_f16 v9, v9, v12
	v_lshrrev_b32_e32 v12, 16, v14
	ds_store_2addr_b32 v105, v33, v35 offset1:100
	v_add_f16_e32 v25, v12, v20
	s_wait_loadcnt 0x0
	ds_store_2addr_b32 v11, v9, v10 offset0:144 offset1:244
	v_lshrrev_b32_e32 v9, 16, v36
	v_mul_f16_e32 v10, v100, v36
	s_delay_alu instid0(VALU_DEP_2) | instskip(NEXT) | instid1(VALU_DEP_2)
	v_mul_f16_e32 v11, v100, v9
	v_fma_f16 v9, v174, v9, -v10
	v_add_f16_e32 v10, v18, v19
	s_delay_alu instid0(VALU_DEP_3) | instskip(NEXT) | instid1(VALU_DEP_2)
	v_fmac_f16_e64 v11, v174, v36
	v_fmac_f16_e32 v14, -0.5, v10
	s_delay_alu instid0(VALU_DEP_2) | instskip(NEXT) | instid1(VALU_DEP_1)
	v_add_f16_e32 v10, v22, v11
	v_fmac_f16_e32 v16, -0.5, v10
	v_add_f16_e32 v10, v21, v9
	s_delay_alu instid0(VALU_DEP_1) | instskip(SKIP_1) | instid1(VALU_DEP_1)
	v_fmac_f16_e32 v17, -0.5, v10
	v_add_f16_e32 v10, v20, v23
	v_fmac_f16_e32 v12, -0.5, v10
	v_sub_f16_e32 v10, v18, v19
	v_sub_f16_e32 v18, v20, v23
	;; [unrolled: 1-line block ×3, first 2 shown]
	v_add_f16_e32 v11, v15, v11
	v_sub_f16_e32 v15, v21, v9
	v_add_f16_e32 v19, v25, v23
	v_add_f16_e32 v9, v24, v9
	v_fmamk_f16 v21, v20, 0x3aee, v17
	v_fmac_f16_e32 v17, 0xbaee, v20
	v_fmamk_f16 v23, v15, 0xbaee, v16
	v_fmamk_f16 v25, v10, 0x3aee, v12
	v_add_f16_e32 v24, v19, v9
	v_mul_f16_e32 v22, 0xbaee, v21
	v_mul_f16_e32 v21, 0.5, v21
	v_sub_f16_e32 v9, v19, v9
	v_fmac_f16_e32 v16, 0x3aee, v15
	v_fmac_f16_e32 v12, 0xbaee, v10
	v_fmac_f16_e32 v22, 0.5, v23
	v_fmac_f16_e32 v21, 0x3aee, v23
	v_add_f16_e32 v23, v13, v11
	v_sub_f16_e32 v11, v13, v11
	v_mul_f16_e32 v10, 0xbaee, v17
	v_mul_f16_e32 v15, -0.5, v17
	v_add_f16_e32 v27, v25, v21
	v_pack_b32_f16 v23, v23, v24
	v_pack_b32_f16 v9, v11, v9
	scratch_load_b32 v11, off, off offset:208 th:TH_LOAD_LU ; 4-byte Folded Reload
	v_fmamk_f16 v24, v18, 0xbaee, v14
	v_fmac_f16_e32 v14, 0x3aee, v18
	v_fmac_f16_e32 v10, -0.5, v16
	v_fmac_f16_e32 v15, 0x3aee, v16
	s_delay_alu instid0(VALU_DEP_4) | instskip(NEXT) | instid1(VALU_DEP_3)
	v_add_f16_e32 v26, v24, v22
	v_add_f16_e32 v13, v14, v10
	s_delay_alu instid0(VALU_DEP_3) | instskip(SKIP_3) | instid1(VALU_DEP_4)
	v_add_f16_e32 v16, v12, v15
	v_sub_f16_e32 v12, v12, v15
	v_add_f16_e32 v15, v2, v5
	v_pack_b32_f16 v26, v26, v27
	v_pack_b32_f16 v13, v13, v16
	ds_store_2addr_b32 v189, v23, v26 offset1:100
	s_wait_loadcnt 0x0
	ds_store_2addr_b32 v11, v13, v9 offset0:72 offset1:172
	v_sub_f16_e32 v9, v14, v10
	v_sub_f16_e32 v10, v24, v22
	v_sub_f16_e32 v11, v25, v21
	v_add_f16_e32 v13, v0, v3
	v_add_f16_e32 v14, v1, v4
	v_pack_b32_f16 v9, v9, v12
	v_lshrrev_b32_e32 v12, 16, v0
	v_pack_b32_f16 v10, v10, v11
	scratch_load_b32 v11, off, off offset:212 th:TH_LOAD_LU ; 4-byte Folded Reload
	v_add_f16_e32 v16, v12, v6
	s_wait_loadcnt 0x0
	ds_store_2addr_b32 v11, v10, v9 offset0:144 offset1:244
	v_lshrrev_b32_e32 v9, 16, v37
	v_mul_f16_e64 v11, v162, v37
	s_delay_alu instid0(VALU_DEP_2) | instskip(NEXT) | instid1(VALU_DEP_2)
	v_mul_f16_e64 v10, v162, v9
	v_fma_f16 v9, v160, v9, -v11
	v_add_f16_e32 v11, v3, v8
	v_sub_f16_e32 v3, v3, v8
	v_add_f16_e32 v8, v13, v8
	v_fmac_f16_e64 v10, v160, v37
	s_delay_alu instid0(VALU_DEP_4) | instskip(NEXT) | instid1(VALU_DEP_2)
	v_fmac_f16_e32 v0, -0.5, v11
	v_add_f16_e32 v11, v4, v10
	v_sub_f16_e32 v4, v4, v10
	v_add_f16_e32 v10, v14, v10
	s_delay_alu instid0(VALU_DEP_3) | instskip(SKIP_3) | instid1(VALU_DEP_3)
	v_fmac_f16_e32 v1, -0.5, v11
	v_add_f16_e32 v11, v5, v9
	v_sub_f16_e32 v5, v5, v9
	v_add_f16_e32 v9, v15, v9
	v_fmac_f16_e32 v2, -0.5, v11
	v_add_f16_e32 v11, v6, v7
	v_sub_f16_e32 v6, v6, v7
	v_add_f16_e32 v7, v16, v7
	v_fmamk_f16 v14, v5, 0xbaee, v1
	v_fmac_f16_e32 v1, 0x3aee, v5
	v_fmac_f16_e32 v12, -0.5, v11
	v_fmamk_f16 v11, v4, 0x3aee, v2
	v_fmac_f16_e32 v2, 0xbaee, v4
	v_add_f16_e32 v15, v7, v9
	v_sub_f16_e32 v4, v7, v9
	v_fmamk_f16 v16, v3, 0x3aee, v12
	v_mul_f16_e32 v13, 0xbaee, v11
	v_mul_f16_e32 v11, 0.5, v11
	v_fmac_f16_e32 v12, 0xbaee, v3
	v_mul_f16_e32 v3, 0xbaee, v2
	v_mul_f16_e32 v2, -0.5, v2
	v_fmac_f16_e32 v13, 0.5, v14
	v_fmac_f16_e32 v11, 0x3aee, v14
	v_add_f16_e32 v14, v8, v10
	v_fmac_f16_e32 v3, -0.5, v1
	v_fmac_f16_e32 v2, 0x3aee, v1
	v_sub_f16_e32 v1, v8, v10
	v_add_f16_e32 v18, v16, v11
	v_pack_b32_f16 v14, v14, v15
	v_fmamk_f16 v15, v6, 0xbaee, v0
	v_fmac_f16_e32 v0, 0x3aee, v6
	v_pack_b32_f16 v1, v1, v4
	scratch_load_b32 v4, off, off offset:200 th:TH_LOAD_LU ; 4-byte Folded Reload
	v_add_f16_e32 v6, v12, v2
	v_sub_f16_e32 v2, v12, v2
	v_add_f16_e32 v5, v0, v3
	v_sub_f16_e32 v0, v0, v3
	;; [unrolled: 2-line block ×3, first 2 shown]
	s_delay_alu instid0(VALU_DEP_4) | instskip(NEXT) | instid1(VALU_DEP_4)
	v_pack_b32_f16 v5, v5, v6
	v_pack_b32_f16 v0, v0, v2
	scratch_load_b32 v2, off, off offset:204 th:TH_LOAD_LU ; 4-byte Folded Reload
	v_pack_b32_f16 v17, v17, v18
	ds_store_2addr_b32 v186, v14, v17 offset1:100
	s_wait_loadcnt 0x1
	ds_store_2addr_b32 v4, v5, v1 offset0:72 offset1:172
	v_sub_f16_e32 v1, v15, v13
	s_delay_alu instid0(VALU_DEP_1)
	v_pack_b32_f16 v1, v1, v3
	s_wait_loadcnt 0x0
	ds_store_2addr_b32 v2, v1, v0 offset0:144 offset1:244
	global_wb scope:SCOPE_SE
	s_wait_dscnt 0x0
	s_barrier_signal -1
	s_barrier_wait -1
	global_inv scope:SCOPE_SE
	ds_load_2addr_b32 v[0:1], v115 offset0:96 offset1:216
	s_wait_dscnt 0x0
	v_lshrrev_b32_e32 v2, 16, v1
	v_mul_f16_e64 v3, v242, v1
	s_delay_alu instid0(VALU_DEP_2) | instskip(NEXT) | instid1(VALU_DEP_2)
	v_mul_f16_e64 v44, v242, v2
	v_fma_f16 v45, v40, v2, -v3
	ds_load_2addr_b32 v[2:3], v114 offset0:48 offset1:168
	v_fmac_f16_e32 v44, v40, v1
	s_wait_dscnt 0x0
	v_lshrrev_b32_e32 v4, 16, v2
	v_mul_f16_e64 v5, v245, v2
	s_delay_alu instid0(VALU_DEP_2) | instskip(NEXT) | instid1(VALU_DEP_2)
	v_mul_f16_e64 v46, v245, v4
	v_fma_f16 v47, v41, v4, -v5
	ds_load_2addr_b32 v[4:5], v120 offset0:16 offset1:136
	v_fmac_f16_e32 v46, v41, v2
	ds_load_2addr_b32 v[1:2], v152 offset0:80 offset1:200
	s_wait_dscnt 0x1
	v_lshrrev_b32_e32 v6, 16, v5
	v_mul_f16_e64 v7, v240, v5
	s_delay_alu instid0(VALU_DEP_2) | instskip(NEXT) | instid1(VALU_DEP_2)
	v_mul_f16_e64 v52, v240, v6
	v_fma_f16 v53, v42, v6, -v7
	ds_load_2addr_b32 v[6:7], v133 offset0:96 offset1:216
	v_fmac_f16_e32 v52, v42, v5
	v_lshrrev_b32_e32 v5, 16, v3
	s_delay_alu instid0(VALU_DEP_1) | instskip(NEXT) | instid1(VALU_DEP_1)
	v_mul_f16_e64 v25, v248, v5
	v_fmac_f16_e32 v25, v49, v3
	v_mul_f16_e64 v3, v248, v3
	s_wait_dscnt 0x0
	v_lshrrev_b32_e32 v8, 16, v6
	v_mul_f16_e64 v9, v251, v6
	s_delay_alu instid0(VALU_DEP_3) | instskip(SKIP_1) | instid1(VALU_DEP_4)
	v_fma_f16 v37, v49, v5, -v3
	v_add_f16_e32 v49, v45, v53
	v_mul_f16_e64 v54, v251, v8
	s_delay_alu instid0(VALU_DEP_4) | instskip(SKIP_2) | instid1(VALU_DEP_4)
	v_fma_f16 v55, v43, v8, -v9
	v_mul_f16_e64 v9, v250, v1
	v_lshrrev_b32_e32 v8, 16, v7
	v_fmac_f16_e32 v54, v43, v6
	v_lshrrev_b32_e32 v6, 16, v1
	v_add_f16_e32 v42, v47, v55
	s_delay_alu instid0(VALU_DEP_4) | instskip(NEXT) | instid1(VALU_DEP_3)
	v_mul_f16_e64 v31, v246, v8
	v_mul_f16_e64 v28, v250, v6
	v_fma_f16 v30, v48, v6, -v9
	ds_load_2addr_b32 v[5:6], v125 offset0:128 offset1:248
	v_fmac_f16_e32 v31, v51, v7
	v_mul_f16_e64 v7, v246, v7
	v_fmac_f16_e32 v28, v48, v1
	v_lshrrev_b32_e32 v1, 16, v2
	v_add_f16_e32 v48, v46, v54
	s_delay_alu instid0(VALU_DEP_4) | instskip(NEXT) | instid1(VALU_DEP_3)
	v_fma_f16 v38, v51, v8, -v7
	v_mul_f16_e64 v23, v200, v1
	s_delay_alu instid0(VALU_DEP_1) | instskip(SKIP_4) | instid1(VALU_DEP_3)
	v_fmac_f16_e32 v23, v60, v2
	v_mul_f16_e64 v2, v200, v2
	s_wait_dscnt 0x0
	v_lshrrev_b32_e32 v3, 16, v5
	v_mul_f16_e64 v9, v249, v5
	v_fma_f16 v34, v60, v1, -v2
	ds_load_2addr_b32 v[1:2], v140 offset0:32 offset1:152
	v_mul_f16_e64 v36, v249, v3
	v_fma_f16 v35, v50, v3, -v9
	ds_load_2addr_b32 v[9:10], v107 offset0:80 offset1:200
	v_lshrrev_b32_e32 v3, 16, v6
	v_fmac_f16_e32 v36, v50, v5
	v_mul_f16_e64 v5, v197, v6
	v_add_f16_e32 v50, v44, v52
	s_delay_alu instid0(VALU_DEP_4) | instskip(NEXT) | instid1(VALU_DEP_3)
	v_mul_f16_e64 v33, v197, v3
	v_fma_f16 v39, v62, v3, -v5
	s_delay_alu instid0(VALU_DEP_2)
	v_fmac_f16_e32 v33, v62, v6
	s_wait_dscnt 0x1
	v_lshrrev_b32_e32 v7, 16, v1
	v_mul_f16_e32 v8, v79, v1
	s_wait_dscnt 0x0
	v_lshrrev_b32_e32 v3, 16, v9
	v_mul_f16_e32 v5, v82, v9
	s_delay_alu instid0(VALU_DEP_3)
	v_fma_f16 v40, v61, v7, -v8
	v_mul_f16_e32 v6, v79, v7
	v_lshrrev_b32_e32 v11, 16, v10
	v_mul_f16_e32 v8, v82, v3
	v_fma_f16 v20, v63, v3, -v5
	v_lshrrev_b32_e32 v3, 16, v2
	v_fmac_f16_e32 v6, v61, v1
	v_mul_f16_e32 v5, v126, v2
	v_mul_f16_e64 v22, v135, v11
	v_fmac_f16_e32 v8, v63, v9
	v_mul_f16_e32 v7, v126, v3
	v_mul_f16_e64 v12, v135, v10
	v_fma_f16 v29, v57, v3, -v5
	v_fmac_f16_e32 v22, v59, v10
	s_delay_alu instid0(VALU_DEP_4)
	v_fmac_f16_e32 v7, v57, v2
	ds_load_2addr_b32 v[1:2], v153 offset0:64 offset1:184
	v_fma_f16 v32, v59, v11, -v12
	s_wait_dscnt 0x0
	v_lshrrev_b32_e32 v9, 16, v1
	v_mul_f16_e64 v10, v255, v1
	s_delay_alu instid0(VALU_DEP_2) | instskip(NEXT) | instid1(VALU_DEP_2)
	v_mul_f16_e64 v24, v255, v9
	v_fma_f16 v21, v56, v9, -v10
	ds_load_2addr_b32 v[9:10], v139 offset0:112 offset1:232
	v_fmac_f16_e32 v24, v56, v1
	v_lshrrev_b32_e32 v1, 16, v2
	s_wait_dscnt 0x0
	v_lshrrev_b32_e32 v3, 16, v9
	v_mul_f16_e32 v5, v81, v9
	v_mul_f16_e64 v12, v209, v10
	s_delay_alu instid0(VALU_DEP_3) | instskip(NEXT) | instid1(VALU_DEP_3)
	v_mul_f16_e32 v27, v81, v3
	v_fma_f16 v26, v58, v3, -v5
	v_mul_f16_e64 v3, v211, v2
	v_mul_f16_e32 v5, v80, v4
	s_delay_alu instid0(VALU_DEP_4) | instskip(SKIP_1) | instid1(VALU_DEP_1)
	v_fmac_f16_e32 v27, v58, v9
	v_mul_f16_e64 v9, v211, v1
	v_fmac_f16_e64 v9, v204, v2
	v_lshrrev_b32_e32 v2, 16, v4
	s_delay_alu instid0(VALU_DEP_1) | instskip(SKIP_1) | instid1(VALU_DEP_2)
	v_mul_f16_e32 v11, v80, v2
	v_fma_f16 v16, v205, v2, -v5
	v_fmac_f16_e64 v11, v205, v4
	v_lshrrev_b32_e32 v4, 16, v10
	s_delay_alu instid0(VALU_DEP_1) | instskip(SKIP_1) | instid1(VALU_DEP_2)
	v_mul_f16_e64 v17, v209, v4
	v_fma_f16 v19, v206, v4, -v12
	v_fmac_f16_e64 v17, v206, v10
	v_fma_f16 v10, v204, v1, -v3
	ds_load_2addr_b32 v[1:2], v145 offset0:64 offset1:184
	s_wait_dscnt 0x0
	v_lshrrev_b32_e32 v3, 16, v1
	v_mul_f16_e32 v4, v106, v1
	s_delay_alu instid0(VALU_DEP_2) | instskip(NEXT) | instid1(VALU_DEP_2)
	v_mul_f16_e32 v14, v106, v3
	v_fma_f16 v18, v207, v3, -v4
	ds_load_2addr_b32 v[3:4], v141 offset0:48 offset1:168
	v_fmac_f16_e64 v14, v207, v1
	s_wait_dscnt 0x0
	v_lshrrev_b32_e32 v1, 16, v3
	v_mul_f16_e64 v5, v219, v3
	s_delay_alu instid0(VALU_DEP_2) | instskip(NEXT) | instid1(VALU_DEP_2)
	v_mul_f16_e64 v41, v219, v1
	v_fma_f16 v15, v217, v1, -v5
	v_lshrrev_b32_e32 v1, 16, v4
	s_delay_alu instid0(VALU_DEP_3) | instskip(SKIP_1) | instid1(VALU_DEP_3)
	v_fmac_f16_e64 v41, v217, v3
	v_mul_f16_e64 v3, v237, v4
	v_mul_f16_e64 v12, v237, v1
	s_delay_alu instid0(VALU_DEP_2) | instskip(NEXT) | instid1(VALU_DEP_2)
	v_fma_f16 v13, v236, v1, -v3
	v_fmac_f16_e64 v12, v236, v4
	v_lshrrev_b32_e32 v1, 16, v2
	v_mul_f16_e64 v4, v215, v2
	s_delay_alu instid0(VALU_DEP_2) | instskip(NEXT) | instid1(VALU_DEP_2)
	v_mul_f16_e64 v3, v215, v1
	v_fma_f16 v1, v213, v1, -v4
	ds_load_2addr_b32 v[4:5], v134 offset1:120
	v_fmac_f16_e64 v3, v213, v2
	s_wait_dscnt 0x0
	v_lshrrev_b32_e32 v2, 16, v4
	s_delay_alu instid0(VALU_DEP_1)
	v_add_f16_e32 v43, v2, v47
	v_fmac_f16_e32 v2, -0.5, v42
	v_add_f16_e32 v42, v4, v46
	v_fma_f16 v4, -0.5, v48, v4
	v_sub_f16_e32 v47, v47, v55
	v_sub_f16_e32 v46, v46, v54
	v_add_f16_e32 v43, v43, v55
	v_add_f16_e32 v42, v42, v54
	s_delay_alu instid0(VALU_DEP_4) | instskip(SKIP_2) | instid1(VALU_DEP_1)
	v_fmamk_f16 v48, v47, 0xbaee, v4
	v_fmac_f16_e32 v4, 0x3aee, v47
	v_add_f16_e32 v47, v53, v1
	v_fmac_f16_e32 v45, -0.5, v47
	v_add_f16_e32 v47, v52, v3
	s_delay_alu instid0(VALU_DEP_1) | instskip(SKIP_4) | instid1(VALU_DEP_2)
	v_fmac_f16_e32 v44, -0.5, v47
	v_fmamk_f16 v47, v46, 0x3aee, v2
	v_fmac_f16_e32 v2, 0xbaee, v46
	v_sub_f16_e32 v46, v52, v3
	v_add_f16_e32 v3, v50, v3
	v_fmamk_f16 v51, v46, 0x3aee, v45
	v_fmac_f16_e32 v45, 0xbaee, v46
	v_sub_f16_e32 v46, v53, v1
	v_add_f16_e32 v1, v49, v1
	s_delay_alu instid0(VALU_DEP_4) | instskip(NEXT) | instid1(VALU_DEP_3)
	v_mul_f16_e32 v49, 0.5, v51
	v_fmamk_f16 v50, v46, 0xbaee, v44
	v_fmac_f16_e32 v44, 0x3aee, v46
	v_mul_f16_e32 v46, 0xbaee, v51
	s_delay_alu instid0(VALU_DEP_3) | instskip(NEXT) | instid1(VALU_DEP_2)
	v_fmac_f16_e32 v49, 0x3aee, v50
	v_fmac_f16_e32 v46, 0.5, v50
	v_mul_f16_e32 v50, 0xbaee, v45
	v_mul_f16_e32 v45, -0.5, v45
	s_delay_alu instid0(VALU_DEP_2) | instskip(NEXT) | instid1(VALU_DEP_2)
	v_fmac_f16_e32 v50, -0.5, v44
	v_fmac_f16_e32 v45, 0x3aee, v44
	v_add_f16_e32 v44, v42, v3
	v_sub_f16_e32 v3, v42, v3
	v_add_f16_e32 v42, v48, v46
	v_sub_f16_e32 v46, v48, v46
	;; [unrolled: 2-line block ×6, first 2 shown]
	v_pack_b32_f16 v45, v3, v1
	v_pack_b32_f16 v42, v42, v43
	v_add_f16_e32 v1, v5, v25
	v_pack_b32_f16 v43, v48, v49
	v_lshrrev_b32_e32 v49, 16, v5
	v_pack_b32_f16 v44, v44, v50
	v_pack_b32_f16 v46, v46, v47
	v_add_f16_e32 v48, v1, v31
	v_pack_b32_f16 v47, v4, v2
	v_add_f16_e32 v1, v49, v37
	s_delay_alu instid0(VALU_DEP_1) | instskip(SKIP_1) | instid1(VALU_DEP_1)
	v_add_f16_e32 v50, v1, v38
	v_add_f16_e32 v1, v28, v36
	;; [unrolled: 1-line block ×4, first 2 shown]
	s_delay_alu instid0(VALU_DEP_1) | instskip(NEXT) | instid1(VALU_DEP_3)
	v_add_f16_e32 v52, v1, v15
	v_add_f16_e32 v1, v48, v51
	s_delay_alu instid0(VALU_DEP_2) | instskip(NEXT) | instid1(VALU_DEP_1)
	v_add_f16_e32 v2, v50, v52
	v_pack_b32_f16 v53, v1, v2
	ds_load_2addr_b32 v[1:2], v154 offset0:112 offset1:232
	ds_load_2addr_b32 v[3:4], v128 offset0:32 offset1:152
	ds_store_b32 v134, v42 offset:2400
	ds_store_b32 v134, v43 offset:4800
	;; [unrolled: 1-line block ×5, first 2 shown]
	ds_store_2addr_b32 v134, v44, v53 offset1:120
	v_add_f16_e32 v42, v25, v31
	v_sub_f16_e32 v25, v25, v31
	v_add_f16_e32 v31, v35, v15
	v_add_f16_e32 v44, v34, v39
	v_sub_f16_e32 v15, v35, v15
	v_fmac_f16_e32 v5, -0.5, v42
	v_add_f16_e32 v42, v37, v38
	v_sub_f16_e32 v37, v37, v38
	v_fmac_f16_e32 v30, -0.5, v31
	v_add_f16_e32 v31, v36, v41
	v_sub_f16_e32 v36, v36, v41
	v_add_f16_e32 v41, v40, v20
	v_fmamk_f16 v38, v37, 0xbaee, v5
	v_fmac_f16_e32 v5, 0x3aee, v37
	v_fmac_f16_e32 v49, -0.5, v42
	v_fmac_f16_e32 v28, -0.5, v31
	v_fmamk_f16 v31, v36, 0x3aee, v30
	s_wait_dscnt 0x7
	v_lshrrev_b32_e32 v37, 16, v1
	v_fmac_f16_e32 v30, 0xbaee, v36
	v_add_f16_e32 v45, v23, v33
	v_fmamk_f16 v35, v25, 0x3aee, v49
	v_fmac_f16_e32 v49, 0xbaee, v25
	v_add_f16_e32 v42, v37, v40
	v_fmac_f16_e32 v37, -0.5, v41
	v_add_f16_e32 v41, v6, v8
	v_sub_f16_e32 v40, v40, v20
	v_fmamk_f16 v25, v15, 0xbaee, v28
	v_fmac_f16_e32 v28, 0x3aee, v15
	v_mul_f16_e32 v15, 0xbaee, v30
	v_fma_f16 v41, -0.5, v41, v1
	v_mul_f16_e32 v30, -0.5, v30
	v_sub_f16_e32 v36, v50, v52
	v_add_f16_e32 v1, v1, v6
	v_fmac_f16_e32 v15, -0.5, v28
	v_fmamk_f16 v43, v40, 0xbaee, v41
	v_fmac_f16_e32 v41, 0x3aee, v40
	v_add_f16_e32 v40, v39, v13
	v_fmac_f16_e32 v30, 0x3aee, v28
	v_sub_f16_e32 v28, v48, v51
	s_delay_alu instid0(VALU_DEP_3) | instskip(SKIP_2) | instid1(VALU_DEP_2)
	v_fmac_f16_e32 v34, -0.5, v40
	v_add_f16_e32 v40, v33, v12
	v_sub_f16_e32 v33, v33, v12
	v_fmac_f16_e32 v23, -0.5, v40
	v_sub_f16_e32 v40, v6, v8
	v_add_f16_e32 v6, v42, v20
	s_delay_alu instid0(VALU_DEP_2) | instskip(SKIP_4) | instid1(VALU_DEP_1)
	v_fmamk_f16 v46, v40, 0x3aee, v37
	v_fmac_f16_e32 v37, 0xbaee, v40
	v_fmamk_f16 v40, v33, 0x3aee, v34
	v_fmac_f16_e32 v34, 0xbaee, v33
	v_sub_f16_e32 v33, v39, v13
	v_fmamk_f16 v39, v33, 0xbaee, v23
	v_fmac_f16_e32 v23, 0x3aee, v33
	s_delay_alu instid0(VALU_DEP_4) | instskip(SKIP_1) | instid1(VALU_DEP_2)
	v_mul_f16_e32 v33, 0xbaee, v34
	v_mul_f16_e32 v34, -0.5, v34
	v_fmac_f16_e32 v33, -0.5, v23
	s_delay_alu instid0(VALU_DEP_2)
	v_fmac_f16_e32 v34, 0x3aee, v23
	v_pack_b32_f16 v23, v28, v36
	v_add_f16_e32 v28, v5, v15
	v_add_f16_e32 v36, v49, v30
	v_sub_f16_e32 v5, v5, v15
	v_add_f16_e32 v47, v37, v34
	s_delay_alu instid0(VALU_DEP_3) | instskip(SKIP_1) | instid1(VALU_DEP_1)
	v_pack_b32_f16 v28, v28, v36
	v_add_f16_e32 v36, v41, v33
	v_pack_b32_f16 v36, v36, v47
	ds_store_b32 v134, v23 offset:7680
	ds_store_2addr_b32 v111, v28, v36 offset0:40 offset1:160
	v_mul_f16_e32 v23, 0xbaee, v31
	v_mul_f16_e32 v28, 0.5, v31
	v_mul_f16_e32 v31, 0.5, v40
	s_delay_alu instid0(VALU_DEP_3) | instskip(NEXT) | instid1(VALU_DEP_3)
	v_fmac_f16_e32 v23, 0.5, v25
	v_fmac_f16_e32 v28, 0x3aee, v25
	v_mul_f16_e32 v25, 0xbaee, v40
	s_delay_alu instid0(VALU_DEP_4) | instskip(NEXT) | instid1(VALU_DEP_4)
	v_fmac_f16_e32 v31, 0x3aee, v39
	v_sub_f16_e32 v36, v38, v23
	v_add_f16_e32 v15, v38, v23
	s_delay_alu instid0(VALU_DEP_4) | instskip(SKIP_4) | instid1(VALU_DEP_4)
	v_fmac_f16_e32 v25, 0.5, v39
	v_sub_f16_e32 v39, v35, v28
	v_add_f16_e32 v23, v35, v28
	v_add_f16_e32 v28, v46, v31
	v_sub_f16_e32 v40, v46, v31
	v_pack_b32_f16 v36, v36, v39
	v_sub_f16_e32 v39, v43, v25
	v_add_f16_e32 v25, v43, v25
	v_pack_b32_f16 v15, v15, v23
	s_delay_alu instid0(VALU_DEP_3) | instskip(NEXT) | instid1(VALU_DEP_3)
	v_pack_b32_f16 v39, v39, v40
	v_pack_b32_f16 v23, v25, v28
	v_sub_f16_e32 v25, v37, v34
	ds_store_2addr_b32 v101, v36, v39 offset0:88 offset1:208
	ds_store_2addr_b32 v152, v15, v23 offset0:80 offset1:200
	v_sub_f16_e32 v15, v49, v30
	v_sub_f16_e32 v23, v41, v33
	v_lshrrev_b32_e32 v33, 16, v151
	s_delay_alu instid0(VALU_DEP_3) | instskip(NEXT) | instid1(VALU_DEP_3)
	v_pack_b32_f16 v5, v5, v15
	v_pack_b32_f16 v15, v23, v25
	ds_store_2addr_b32 v141, v5, v15 offset0:48 offset1:168
	v_add_f16_e32 v5, v1, v8
	s_wait_dscnt 0xb
	v_lshrrev_b32_e32 v1, 16, v3
	v_add_f16_e32 v8, v45, v12
	v_add_f16_e32 v12, v44, v13
	v_mul_f16_e64 v13, v176, v3
	s_delay_alu instid0(VALU_DEP_4) | instskip(NEXT) | instid1(VALU_DEP_2)
	v_mul_f16_e64 v15, v176, v1
	v_fma_f16 v13, v175, v1, -v13
	v_add_f16_e32 v1, v5, v8
	s_delay_alu instid0(VALU_DEP_3)
	v_fmac_f16_e64 v15, v175, v3
	v_add_f16_e32 v3, v6, v12
	v_sub_f16_e32 v5, v5, v8
	v_sub_f16_e32 v6, v6, v12
	;; [unrolled: 1-line block ×3, first 2 shown]
	v_add_f16_e32 v12, v27, v15
	v_pack_b32_f16 v3, v1, v3
	v_add_f16_e32 v1, v2, v7
	v_pack_b32_f16 v5, v5, v6
	s_delay_alu instid0(VALU_DEP_2) | instskip(SKIP_1) | instid1(VALU_DEP_1)
	v_add_f16_e32 v25, v1, v22
	v_lshrrev_b32_e32 v1, 16, v2
	v_add_f16_e32 v20, v1, v29
	s_delay_alu instid0(VALU_DEP_1) | instskip(SKIP_2) | instid1(VALU_DEP_2)
	v_add_f16_e32 v28, v20, v32
	v_add_f16_e32 v20, v24, v27
	v_fmac_f16_e32 v24, -0.5, v12
	v_add_f16_e32 v30, v20, v15
	v_add_f16_e32 v20, v21, v26
	v_sub_f16_e32 v15, v27, v15
	v_add_f16_e32 v27, v9, v17
	s_delay_alu instid0(VALU_DEP_3) | instskip(SKIP_1) | instid1(VALU_DEP_2)
	v_add_f16_e32 v31, v20, v13
	v_add_f16_e32 v20, v25, v30
	;; [unrolled: 1-line block ×3, first 2 shown]
	s_delay_alu instid0(VALU_DEP_1) | instskip(SKIP_3) | instid1(VALU_DEP_2)
	v_pack_b32_f16 v20, v20, v23
	ds_store_2addr_b32 v154, v3, v20 offset0:112 offset1:232
	v_add_f16_e32 v3, v7, v22
	v_sub_f16_e32 v7, v7, v22
	v_fmac_f16_e32 v2, -0.5, v3
	v_add_f16_e32 v3, v29, v32
	v_lshrrev_b32_e32 v32, 16, v157
	s_delay_alu instid0(VALU_DEP_2) | instskip(SKIP_1) | instid1(VALU_DEP_1)
	v_fmac_f16_e32 v1, -0.5, v3
	v_add_f16_e32 v3, v26, v13
	v_fmac_f16_e32 v21, -0.5, v3
	v_fmamk_f16 v3, v8, 0xbaee, v2
	v_fmac_f16_e32 v2, 0x3aee, v8
	v_sub_f16_e32 v8, v26, v13
	v_add_f16_e32 v26, v10, v19
	v_fmamk_f16 v20, v15, 0x3aee, v21
	v_fmac_f16_e32 v21, 0xbaee, v15
	v_fmamk_f16 v15, v7, 0x3aee, v1
	v_fmamk_f16 v22, v8, 0xbaee, v24
	v_fmac_f16_e32 v24, 0x3aee, v8
	v_fmac_f16_e32 v1, 0xbaee, v7
	v_mul_f16_e32 v23, 0xbaee, v21
	v_mul_f16_e32 v21, -0.5, v21
	v_sub_f16_e32 v7, v25, v30
	v_sub_f16_e32 v8, v28, v31
	s_delay_alu instid0(VALU_DEP_4) | instskip(NEXT) | instid1(VALU_DEP_4)
	v_fmac_f16_e32 v23, -0.5, v24
	v_fmac_f16_e32 v21, 0x3aee, v24
	s_delay_alu instid0(VALU_DEP_3) | instskip(NEXT) | instid1(VALU_DEP_3)
	v_pack_b32_f16 v7, v7, v8
	v_add_f16_e32 v6, v2, v23
	s_delay_alu instid0(VALU_DEP_3) | instskip(SKIP_3) | instid1(VALU_DEP_4)
	v_add_f16_e32 v12, v1, v21
	v_sub_f16_e32 v2, v2, v23
	v_lshrrev_b32_e32 v23, 16, v0
	v_sub_f16_e32 v1, v1, v21
	v_pack_b32_f16 v6, v6, v12
	ds_store_b32 v134, v6 offset:6240
	ds_store_2addr_b32 v201, v5, v7 offset0:120 offset1:240
	scratch_load_b32 v24, off, off offset:180 th:TH_LOAD_LU ; 4-byte Folded Reload
	v_mad_co_u64_u32 v[5:6], null, s10, v138, 0
	v_pack_b32_f16 v1, v2, v1
	s_delay_alu instid0(VALU_DEP_2) | instskip(SKIP_2) | instid1(VALU_DEP_2)
	v_mad_co_u64_u32 v[6:7], null, s11, v138, v[6:7]
	v_mad_co_u64_u32 v[7:8], null, s8, v155, 0
	s_mul_u64 s[10:11], s[8:9], 0x5a0
	v_lshlrev_b64_e32 v[5:6], 2, v[5:6]
	s_delay_alu instid0(VALU_DEP_2) | instskip(NEXT) | instid1(VALU_DEP_1)
	v_mad_co_u64_u32 v[12:13], null, s9, v155, v[8:9]
	v_mov_b32_e32 v8, v12
	s_wait_loadcnt 0x0
	v_mad_co_u64_u32 v[12:13], null, s8, v24, 0
	s_delay_alu instid0(VALU_DEP_1) | instskip(NEXT) | instid1(VALU_DEP_1)
	v_mad_co_u64_u32 v[24:25], null, s9, v24, v[13:14]
	v_mov_b32_e32 v13, v24
	v_add_co_u32 v24, vcc_lo, s0, v5
	s_wait_alu 0xfffd
	v_add_co_ci_u32_e32 v25, vcc_lo, s1, v6, vcc_lo
	v_lshlrev_b64_e32 v[5:6], 2, v[7:8]
	v_lshlrev_b64_e32 v[7:8], 2, v[12:13]
	s_delay_alu instid0(VALU_DEP_2) | instskip(SKIP_1) | instid1(VALU_DEP_3)
	v_add_co_u32 v5, vcc_lo, v24, v5
	s_wait_alu 0xfffd
	v_add_co_ci_u32_e32 v6, vcc_lo, v25, v6, vcc_lo
	s_delay_alu instid0(VALU_DEP_3) | instskip(SKIP_4) | instid1(VALU_DEP_3)
	v_add_co_u32 v12, vcc_lo, v24, v7
	v_lshrrev_b32_e32 v7, 16, v4
	s_wait_alu 0xfffd
	v_add_co_ci_u32_e32 v13, vcc_lo, v25, v8, vcc_lo
	v_mul_f16_e64 v24, v192, v4
	v_mul_f16_e64 v8, v192, v7
	s_delay_alu instid0(VALU_DEP_1) | instskip(NEXT) | instid1(VALU_DEP_3)
	v_fmac_f16_e64 v8, v156, v4
	v_fma_f16 v4, v156, v7, -v24
	v_add_f16_e32 v7, v11, v14
	v_add_f16_e32 v24, v0, v11
	v_sub_f16_e32 v11, v11, v14
	s_delay_alu instid0(VALU_DEP_3) | instskip(SKIP_1) | instid1(VALU_DEP_1)
	v_fmac_f16_e32 v0, -0.5, v7
	v_sub_f16_e32 v7, v16, v18
	v_fmamk_f16 v25, v7, 0xbaee, v0
	v_fmac_f16_e32 v0, 0x3aee, v7
	v_add_f16_e32 v7, v19, v4
	s_delay_alu instid0(VALU_DEP_1) | instskip(SKIP_1) | instid1(VALU_DEP_1)
	v_fmac_f16_e32 v10, -0.5, v7
	v_add_f16_e32 v7, v17, v8
	v_fmac_f16_e32 v9, -0.5, v7
	v_sub_f16_e32 v7, v17, v8
	v_add_f16_e32 v8, v27, v8
	s_delay_alu instid0(VALU_DEP_2) | instskip(SKIP_3) | instid1(VALU_DEP_2)
	v_fmamk_f16 v17, v7, 0x3aee, v10
	v_fmac_f16_e32 v10, 0xbaee, v7
	v_sub_f16_e32 v7, v19, v4
	v_add_f16_e32 v4, v26, v4
	v_fmamk_f16 v19, v7, 0xbaee, v9
	v_fmac_f16_e32 v9, 0x3aee, v7
	v_mul_f16_e32 v7, 0xbaee, v10
	s_delay_alu instid0(VALU_DEP_1) | instskip(NEXT) | instid1(VALU_DEP_1)
	v_fmac_f16_e32 v7, -0.5, v9
	v_add_f16_e32 v28, v0, v7
	v_sub_f16_e32 v0, v0, v7
	v_mul_f16_e32 v7, 0xbaee, v20
	v_mul_f16_e32 v20, 0.5, v20
	s_delay_alu instid0(VALU_DEP_2) | instskip(NEXT) | instid1(VALU_DEP_2)
	v_fmac_f16_e32 v7, 0.5, v22
	v_fmac_f16_e32 v20, 0x3aee, v22
	s_delay_alu instid0(VALU_DEP_2) | instskip(SKIP_1) | instid1(VALU_DEP_3)
	v_add_f16_e32 v22, v3, v7
	v_sub_f16_e32 v3, v3, v7
	v_add_f16_e32 v7, v15, v20
	v_sub_f16_e32 v15, v15, v20
	v_add_f16_e32 v20, v16, v18
	v_add_f16_e32 v16, v23, v16
	s_delay_alu instid0(VALU_DEP_4) | instskip(NEXT) | instid1(VALU_DEP_4)
	v_pack_b32_f16 v7, v22, v7
	v_pack_b32_f16 v2, v3, v15
	s_delay_alu instid0(VALU_DEP_4) | instskip(SKIP_4) | instid1(VALU_DEP_4)
	v_fmac_f16_e32 v23, -0.5, v20
	v_add_f16_e32 v20, v24, v14
	v_add_f16_e32 v14, v16, v18
	v_mul_f16_e32 v16, 0xbaee, v17
	v_mul_f16_e32 v17, 0.5, v17
	v_add_f16_e32 v3, v20, v8
	s_delay_alu instid0(VALU_DEP_4) | instskip(NEXT) | instid1(VALU_DEP_4)
	v_add_f16_e32 v15, v14, v4
	v_fmac_f16_e32 v16, 0.5, v19
	s_delay_alu instid0(VALU_DEP_4) | instskip(SKIP_1) | instid1(VALU_DEP_4)
	v_fmac_f16_e32 v17, 0x3aee, v19
	v_sub_f16_e32 v4, v14, v4
	v_pack_b32_f16 v3, v3, v15
	v_fmamk_f16 v15, v11, 0x3aee, v23
	v_add_f16_e32 v18, v25, v16
	v_fmac_f16_e32 v23, 0xbaee, v11
	s_delay_alu instid0(VALU_DEP_3) | instskip(NEXT) | instid1(VALU_DEP_1)
	v_add_f16_e32 v19, v15, v17
	v_pack_b32_f16 v18, v18, v19
	ds_store_b32 v134, v1 offset:13440
	ds_store_b32 v134, v2 offset:11040
	;; [unrolled: 1-line block ×3, first 2 shown]
	ds_store_2addr_b32 v153, v7, v18 offset0:64 offset1:184
	v_mul_f16_e32 v1, -0.5, v10
	v_sub_f16_e32 v2, v20, v8
	v_sub_f16_e32 v3, v25, v16
	;; [unrolled: 1-line block ×3, first 2 shown]
	v_lshrrev_b32_e32 v20, 16, v182
	v_fmac_f16_e32 v1, 0x3aee, v9
	v_pack_b32_f16 v2, v2, v4
	s_delay_alu instid0(VALU_DEP_4) | instskip(NEXT) | instid1(VALU_DEP_3)
	v_pack_b32_f16 v3, v3, v7
	v_add_f16_e32 v8, v23, v1
	v_sub_f16_e32 v1, v23, v1
	s_delay_alu instid0(VALU_DEP_2) | instskip(NEXT) | instid1(VALU_DEP_2)
	v_pack_b32_f16 v8, v28, v8
	v_pack_b32_f16 v0, v0, v1
	ds_store_b32 v134, v8 offset:6720
	ds_store_b32 v134, v2 offset:9120
	;; [unrolled: 1-line block ×4, first 2 shown]
	global_wb scope:SCOPE_SE
	s_wait_dscnt 0x0
	s_barrier_signal -1
	s_barrier_wait -1
	global_inv scope:SCOPE_SE
	s_clause 0x1
	scratch_load_b32 v22, off, off offset:184 th:TH_LOAD_LU
	scratch_load_b32 v23, off, off offset:188 th:TH_LOAD_LU
	ds_load_2addr_b32 v[0:1], v134 offset1:120
	s_clause 0x8
	scratch_load_b32 v31, off, off offset:168 th:TH_LOAD_LU
	scratch_load_b32 v34, off, off offset:172 th:TH_LOAD_LU
	;; [unrolled: 1-line block ×9, first 2 shown]
	s_wait_dscnt 0x0
	v_lshrrev_b32_e32 v4, 16, v0
	v_mul_f16_e32 v2, v20, v0
	s_delay_alu instid0(VALU_DEP_1) | instskip(SKIP_1) | instid1(VALU_DEP_2)
	v_fma_f16 v2, v182, v4, -v2
	v_mul_f16_e32 v4, v20, v4
	v_cvt_f32_f16_e32 v2, v2
	s_delay_alu instid0(VALU_DEP_2) | instskip(NEXT) | instid1(VALU_DEP_2)
	v_fmac_f16_e64 v4, v182, v0
	v_cvt_f64_f32_e32 v[2:3], v2
	s_delay_alu instid0(VALU_DEP_2) | instskip(NEXT) | instid1(VALU_DEP_2)
	v_cvt_f32_f16_e32 v0, v4
	v_mul_f64_e32 v[2:3], s[12:13], v[2:3]
	s_delay_alu instid0(VALU_DEP_1) | instskip(SKIP_1) | instid1(VALU_DEP_2)
	v_and_or_b32 v2, 0x1ff, v3, v2
	v_lshrrev_b32_e32 v7, 8, v3
	v_cmp_ne_u32_e32 vcc_lo, 0, v2
	s_wait_alu 0xfffd
	v_cndmask_b32_e64 v2, 0, 1, vcc_lo
	s_delay_alu instid0(VALU_DEP_1) | instskip(SKIP_1) | instid1(VALU_DEP_2)
	v_and_or_b32 v2, 0xffe, v7, v2
	v_bfe_u32 v7, v3, 20, 11
	v_or_b32_e32 v9, 0x1000, v2
	s_delay_alu instid0(VALU_DEP_2) | instskip(SKIP_1) | instid1(VALU_DEP_2)
	v_sub_nc_u32_e32 v8, 0x3f1, v7
	v_add_nc_u32_e32 v7, 0xfffffc10, v7
	v_med3_i32 v8, v8, 0, 13
	s_delay_alu instid0(VALU_DEP_1) | instskip(NEXT) | instid1(VALU_DEP_1)
	v_lshrrev_b32_e32 v16, v8, v9
	v_lshlrev_b32_e32 v8, v8, v16
	s_delay_alu instid0(VALU_DEP_1)
	v_cmp_ne_u32_e32 vcc_lo, v8, v9
	ds_load_2addr_b32 v[8:9], v154 offset0:112 offset1:232
	s_wait_dscnt 0x0
	v_lshrrev_b32_e32 v17, 16, v9
	s_wait_loadcnt 0xa
	v_mul_f16_e32 v10, v22, v9
	s_wait_loadcnt 0x9
	s_delay_alu instid0(VALU_DEP_1) | instskip(NEXT) | instid1(VALU_DEP_1)
	v_fma_f16 v10, v23, v17, -v10
	v_cvt_f32_f16_e32 v10, v10
	s_delay_alu instid0(VALU_DEP_1) | instskip(NEXT) | instid1(VALU_DEP_1)
	v_cvt_f64_f32_e32 v[10:11], v10
	v_mul_f64_e32 v[14:15], s[12:13], v[10:11]
	s_delay_alu instid0(VALU_DEP_1) | instskip(SKIP_2) | instid1(VALU_DEP_3)
	v_and_or_b32 v10, 0x1ff, v15, v14
	v_lshrrev_b32_e32 v11, 8, v15
	v_bfe_u32 v18, v15, 20, 11
	v_cmp_ne_u32_e64 s0, 0, v10
	s_wait_alu 0xf1ff
	s_delay_alu instid0(VALU_DEP_1) | instskip(NEXT) | instid1(VALU_DEP_1)
	v_cndmask_b32_e64 v10, 0, 1, s0
	v_and_or_b32 v14, 0xffe, v11, v10
	v_sub_nc_u32_e32 v10, 0x3f1, v18
	v_add_nc_u32_e32 v18, 0xfffffc10, v18
	s_delay_alu instid0(VALU_DEP_3) | instskip(NEXT) | instid1(VALU_DEP_3)
	v_or_b32_e32 v11, 0x1000, v14
	v_med3_i32 v10, v10, 0, 13
	v_cmp_ne_u32_e64 s5, 0, v14
	s_delay_alu instid0(VALU_DEP_2) | instskip(NEXT) | instid1(VALU_DEP_1)
	v_lshrrev_b32_e32 v19, v10, v11
	v_lshlrev_b32_e32 v10, v10, v19
	s_delay_alu instid0(VALU_DEP_1) | instskip(SKIP_1) | instid1(VALU_DEP_1)
	v_cmp_ne_u32_e64 s0, v10, v11
	v_cvt_f64_f32_e32 v[10:11], v0
	v_mul_f64_e32 v[10:11], s[12:13], v[10:11]
	s_delay_alu instid0(VALU_DEP_1) | instskip(SKIP_1) | instid1(VALU_DEP_2)
	v_and_or_b32 v0, 0x1ff, v11, v10
	v_lshrrev_b32_e32 v4, 8, v11
	v_cmp_ne_u32_e64 s1, 0, v0
	s_wait_alu 0xf1ff
	s_delay_alu instid0(VALU_DEP_1) | instskip(NEXT) | instid1(VALU_DEP_1)
	v_cndmask_b32_e64 v0, 0, 1, s1
	v_and_or_b32 v0, 0xffe, v4, v0
	v_bfe_u32 v4, v11, 20, 11
	s_delay_alu instid0(VALU_DEP_2) | instskip(NEXT) | instid1(VALU_DEP_2)
	v_or_b32_e32 v20, 0x1000, v0
	v_sub_nc_u32_e32 v10, 0x3f1, v4
	v_add_nc_u32_e32 v4, 0xfffffc10, v4
	v_cmp_ne_u32_e64 s3, 0, v0
	s_delay_alu instid0(VALU_DEP_3) | instskip(NEXT) | instid1(VALU_DEP_1)
	v_med3_i32 v10, v10, 0, 13
	v_lshrrev_b32_e32 v21, v10, v20
	s_delay_alu instid0(VALU_DEP_1) | instskip(NEXT) | instid1(VALU_DEP_1)
	v_lshlrev_b32_e32 v10, v10, v21
	v_cmp_ne_u32_e64 s1, v10, v20
	v_lshl_or_b32 v20, v4, 12, v0
	s_wait_alu 0xfffd
	v_cndmask_b32_e64 v0, 0, 1, vcc_lo
	v_cmp_gt_i32_e32 vcc_lo, 1, v7
	s_wait_alu 0xf1ff
	v_cndmask_b32_e64 v10, 0, 1, s1
	v_cmp_gt_i32_e64 s1, 1, v4
	v_or_b32_e32 v0, v16, v0
	v_lshl_or_b32 v16, v7, 12, v2
	s_delay_alu instid0(VALU_DEP_4) | instskip(SKIP_1) | instid1(VALU_DEP_2)
	v_or_b32_e32 v10, v21, v10
	s_wait_alu 0xfffd
	v_cndmask_b32_e32 v0, v16, v0, vcc_lo
	s_wait_alu 0xfffe
	v_cndmask_b32_e64 v16, 0, 1, s3
	s_wait_alu 0xf1ff
	v_cndmask_b32_e64 v10, v20, v10, s1
	s_delay_alu instid0(VALU_DEP_2) | instskip(NEXT) | instid1(VALU_DEP_2)
	v_lshl_or_b32 v16, v16, 9, 0x7c00
	v_and_b32_e32 v20, 7, v10
	v_lshrrev_b32_e32 v10, 2, v10
	s_delay_alu instid0(VALU_DEP_2) | instskip(SKIP_1) | instid1(VALU_DEP_1)
	v_cmp_lt_i32_e64 s1, 5, v20
	v_cmp_eq_u32_e64 s2, 3, v20
	s_or_b32 vcc_lo, s2, s1
	v_cmp_ne_u32_e64 s2, 0, v2
	s_wait_alu 0xfffe
	v_add_co_ci_u32_e32 v10, vcc_lo, 0, v10, vcc_lo
	v_cmp_gt_i32_e32 vcc_lo, 31, v4
	s_wait_alu 0xf1ff
	v_cndmask_b32_e64 v2, 0, 1, s2
	s_wait_alu 0xfffd
	v_cndmask_b32_e32 v10, 0x7c00, v10, vcc_lo
	v_cmp_eq_u32_e32 vcc_lo, 0x40f, v4
	s_delay_alu instid0(VALU_DEP_3) | instskip(SKIP_1) | instid1(VALU_DEP_3)
	v_lshl_or_b32 v2, v2, 9, 0x7c00
	s_wait_alu 0xfffd
	v_cndmask_b32_e32 v4, v10, v16, vcc_lo
	v_lshrrev_b32_e32 v10, 16, v11
	v_and_b32_e32 v11, 7, v0
	v_lshrrev_b32_e32 v0, 2, v0
	s_delay_alu instid0(VALU_DEP_2) | instskip(SKIP_1) | instid1(VALU_DEP_1)
	v_cmp_lt_i32_e32 vcc_lo, 5, v11
	v_cmp_eq_u32_e64 s1, 3, v11
	s_or_b32 vcc_lo, s1, vcc_lo
	s_wait_alu 0xfffe
	v_add_co_ci_u32_e32 v0, vcc_lo, 0, v0, vcc_lo
	v_cmp_gt_i32_e32 vcc_lo, 31, v7
	s_wait_alu 0xfffd
	s_delay_alu instid0(VALU_DEP_2) | instskip(SKIP_2) | instid1(VALU_DEP_2)
	v_cndmask_b32_e32 v0, 0x7c00, v0, vcc_lo
	v_cmp_eq_u32_e32 vcc_lo, 0x40f, v7
	s_wait_alu 0xfffd
	v_cndmask_b32_e32 v0, v0, v2, vcc_lo
	v_lshrrev_b32_e32 v2, 16, v3
	v_and_or_b32 v3, 0x8000, v10, v4
	ds_load_2addr_b32 v[10:11], v152 offset0:80 offset1:200
	v_and_or_b32 v0, 0x8000, v2, v0
	v_and_b32_e32 v2, 0xffff, v3
	s_delay_alu instid0(VALU_DEP_1)
	v_lshl_or_b32 v0, v0, 16, v2
	v_add_co_u32 v2, vcc_lo, v5, s10
	s_wait_alu 0xfffd
	v_add_co_ci_u32_e32 v3, vcc_lo, s11, v6, vcc_lo
	global_store_b32 v[5:6], v0, off
	scratch_load_b32 v5, off, off offset:192 th:TH_LOAD_LU ; 4-byte Folded Reload
	s_wait_dscnt 0x0
	v_lshrrev_b32_e32 v0, 16, v10
	s_wait_loadcnt 0x0
	v_lshrrev_b32_e32 v29, 16, v5
	v_mov_b32_e32 v30, v5
	s_delay_alu instid0(VALU_DEP_2) | instskip(NEXT) | instid1(VALU_DEP_1)
	v_mul_f16_e32 v4, v29, v10
	v_fma_f16 v4, v5, v0, -v4
	v_mul_f16_e32 v0, v29, v0
	s_delay_alu instid0(VALU_DEP_2) | instskip(NEXT) | instid1(VALU_DEP_2)
	v_cvt_f32_f16_e32 v4, v4
	v_fmac_f16_e32 v0, v30, v10
	s_delay_alu instid0(VALU_DEP_2) | instskip(NEXT) | instid1(VALU_DEP_2)
	v_cvt_f64_f32_e32 v[4:5], v4
	v_cvt_f32_f16_e32 v0, v0
	s_delay_alu instid0(VALU_DEP_2) | instskip(NEXT) | instid1(VALU_DEP_1)
	v_mul_f64_e32 v[4:5], s[12:13], v[4:5]
	v_and_or_b32 v4, 0x1ff, v5, v4
	v_lshrrev_b32_e32 v6, 8, v5
	v_bfe_u32 v20, v5, 20, 11
	s_delay_alu instid0(VALU_DEP_3) | instskip(SKIP_2) | instid1(VALU_DEP_1)
	v_cmp_ne_u32_e32 vcc_lo, 0, v4
	s_wait_alu 0xfffd
	v_cndmask_b32_e64 v4, 0, 1, vcc_lo
	v_and_or_b32 v4, 0xffe, v6, v4
	v_sub_nc_u32_e32 v6, 0x3f1, v20
	s_delay_alu instid0(VALU_DEP_2) | instskip(NEXT) | instid1(VALU_DEP_2)
	v_or_b32_e32 v7, 0x1000, v4
	v_med3_i32 v6, v6, 0, 13
	s_delay_alu instid0(VALU_DEP_1) | instskip(NEXT) | instid1(VALU_DEP_1)
	v_lshrrev_b32_e32 v21, v6, v7
	v_lshlrev_b32_e32 v6, v6, v21
	s_delay_alu instid0(VALU_DEP_1) | instskip(SKIP_1) | instid1(VALU_DEP_1)
	v_cmp_ne_u32_e32 vcc_lo, v6, v7
	v_mul_f16_e32 v6, v22, v17
	v_fmac_f16_e32 v6, v23, v9
	s_delay_alu instid0(VALU_DEP_1) | instskip(NEXT) | instid1(VALU_DEP_1)
	v_cvt_f32_f16_e32 v6, v6
	v_cvt_f64_f32_e32 v[6:7], v6
	s_delay_alu instid0(VALU_DEP_1) | instskip(NEXT) | instid1(VALU_DEP_1)
	v_mul_f64_e32 v[6:7], s[12:13], v[6:7]
	v_and_or_b32 v6, 0x1ff, v7, v6
	v_lshrrev_b32_e32 v9, 8, v7
	s_delay_alu instid0(VALU_DEP_2) | instskip(SKIP_1) | instid1(VALU_DEP_1)
	v_cmp_ne_u32_e64 s1, 0, v6
	s_wait_alu 0xf1ff
	v_cndmask_b32_e64 v6, 0, 1, s1
	s_delay_alu instid0(VALU_DEP_1) | instskip(SKIP_2) | instid1(VALU_DEP_3)
	v_and_or_b32 v6, 0xffe, v9, v6
	v_bfe_u32 v9, v7, 20, 11
	v_lshrrev_b32_e32 v7, 16, v7
	v_or_b32_e32 v17, 0x1000, v6
	s_delay_alu instid0(VALU_DEP_3) | instskip(SKIP_2) | instid1(VALU_DEP_3)
	v_sub_nc_u32_e32 v16, 0x3f1, v9
	v_add_nc_u32_e32 v9, 0xfffffc10, v9
	v_cmp_ne_u32_e64 s2, 0, v6
	v_med3_i32 v16, v16, 0, 13
	s_delay_alu instid0(VALU_DEP_1) | instskip(NEXT) | instid1(VALU_DEP_1)
	v_lshrrev_b32_e32 v22, v16, v17
	v_lshlrev_b32_e32 v16, v16, v22
	s_delay_alu instid0(VALU_DEP_1) | instskip(SKIP_2) | instid1(VALU_DEP_2)
	v_cmp_ne_u32_e64 s1, v16, v17
	v_lshl_or_b32 v17, v9, 12, v6
	s_wait_alu 0xf1ff
	v_cndmask_b32_e64 v16, 0, 1, s1
	v_cmp_gt_i32_e64 s1, 1, v9
	s_delay_alu instid0(VALU_DEP_2) | instskip(SKIP_1) | instid1(VALU_DEP_1)
	v_or_b32_e32 v16, v22, v16
	s_wait_alu 0xf1ff
	v_cndmask_b32_e64 v16, v17, v16, s1
	v_cndmask_b32_e64 v17, 0, 1, s0
	v_cmp_gt_i32_e64 s0, 1, v18
	s_delay_alu instid0(VALU_DEP_2) | instskip(SKIP_3) | instid1(VALU_DEP_2)
	v_or_b32_e32 v17, v19, v17
	v_lshl_or_b32 v19, v18, 12, v14
	v_cndmask_b32_e64 v14, 0, 1, s2
	s_wait_alu 0xf1ff
	v_cndmask_b32_e64 v17, v19, v17, s0
	v_and_b32_e32 v19, 7, v16
	s_delay_alu instid0(VALU_DEP_3) | instskip(NEXT) | instid1(VALU_DEP_3)
	v_lshl_or_b32 v14, v14, 9, 0x7c00
	v_and_b32_e32 v6, 7, v17
	s_delay_alu instid0(VALU_DEP_3) | instskip(SKIP_1) | instid1(VALU_DEP_3)
	v_cmp_lt_i32_e64 s0, 5, v19
	v_cmp_eq_u32_e64 s1, 3, v19
	v_cmp_lt_i32_e64 s3, 5, v6
	v_cmp_eq_u32_e64 s4, 3, v6
	v_lshrrev_b32_e32 v6, 2, v16
	s_delay_alu instid0(VALU_DEP_4) | instskip(SKIP_1) | instid1(VALU_DEP_1)
	s_or_b32 s0, s1, s0
	s_wait_alu 0xfffe
	v_add_co_ci_u32_e64 v6, s0, 0, v6, s0
	v_cmp_gt_i32_e64 s0, 31, v9
	s_wait_alu 0xf1ff
	s_delay_alu instid0(VALU_DEP_1) | instskip(SKIP_3) | instid1(VALU_DEP_2)
	v_cndmask_b32_e64 v6, 0x7c00, v6, s0
	v_cmp_eq_u32_e64 s0, 0x40f, v9
	v_lshrrev_b32_e32 v9, 2, v17
	s_wait_alu 0xf1ff
	v_cndmask_b32_e64 v6, v6, v14, s0
	s_or_b32 s0, s4, s3
	v_cndmask_b32_e64 v14, 0, 1, s5
	s_wait_alu 0xfffe
	v_add_co_ci_u32_e64 v9, s0, 0, v9, s0
	v_cmp_gt_i32_e64 s0, 31, v18
	v_and_or_b32 v6, 0x8000, v7, v6
	v_lshl_or_b32 v14, v14, 9, 0x7c00
	s_wait_alu 0xf1ff
	s_delay_alu instid0(VALU_DEP_3) | instskip(SKIP_3) | instid1(VALU_DEP_2)
	v_cndmask_b32_e64 v9, 0x7c00, v9, s0
	v_cmp_eq_u32_e64 s0, 0x40f, v18
	v_and_b32_e32 v6, 0xffff, v6
	s_wait_alu 0xf1ff
	v_cndmask_b32_e64 v9, v9, v14, s0
	v_lshrrev_b32_e32 v14, 16, v15
	s_delay_alu instid0(VALU_DEP_1) | instskip(NEXT) | instid1(VALU_DEP_1)
	v_and_or_b32 v7, 0x8000, v14, v9
	v_lshl_or_b32 v6, v7, 16, v6
	global_store_b32 v[2:3], v6, off
	ds_load_2addr_b32 v[6:7], v153 offset0:64 offset1:184
	v_add_co_u32 v2, s0, v2, s10
	s_wait_alu 0xf1ff
	v_add_co_ci_u32_e64 v3, s0, s11, v3, s0
	s_wait_dscnt 0x0
	v_lshrrev_b32_e32 v19, 16, v7
	v_mul_f16_e32 v9, v31, v7
	s_delay_alu instid0(VALU_DEP_1) | instskip(NEXT) | instid1(VALU_DEP_1)
	v_fma_f16 v9, v34, v19, -v9
	v_cvt_f32_f16_e32 v9, v9
	s_delay_alu instid0(VALU_DEP_1) | instskip(NEXT) | instid1(VALU_DEP_1)
	v_cvt_f64_f32_e32 v[14:15], v9
	v_mul_f64_e32 v[15:16], s[12:13], v[14:15]
	s_delay_alu instid0(VALU_DEP_1) | instskip(SKIP_3) | instid1(VALU_DEP_4)
	v_and_or_b32 v9, 0x1ff, v16, v15
	v_lshrrev_b32_e32 v14, 8, v16
	v_bfe_u32 v23, v16, 20, 11
	v_lshrrev_b32_e32 v16, 16, v16
	v_cmp_ne_u32_e64 s0, 0, v9
	s_wait_alu 0xf1ff
	s_delay_alu instid0(VALU_DEP_1) | instskip(NEXT) | instid1(VALU_DEP_1)
	v_cndmask_b32_e64 v9, 0, 1, s0
	v_and_or_b32 v22, 0xffe, v14, v9
	v_sub_nc_u32_e32 v9, 0x3f1, v23
	s_delay_alu instid0(VALU_DEP_2) | instskip(NEXT) | instid1(VALU_DEP_2)
	v_or_b32_e32 v14, 0x1000, v22
	v_med3_i32 v9, v9, 0, 13
	s_delay_alu instid0(VALU_DEP_1) | instskip(NEXT) | instid1(VALU_DEP_1)
	v_lshrrev_b32_e32 v24, v9, v14
	v_lshlrev_b32_e32 v9, v9, v24
	s_delay_alu instid0(VALU_DEP_1) | instskip(SKIP_4) | instid1(VALU_DEP_1)
	v_cmp_ne_u32_e64 s1, v9, v14
	ds_load_2addr_b32 v[14:15], v140 offset0:32 offset1:152
	s_wait_dscnt 0x0
	v_lshrrev_b32_e32 v25, 16, v14
	v_mul_f16_e32 v9, v33, v14
	v_fma_f16 v9, v151, v25, -v9
	s_delay_alu instid0(VALU_DEP_1) | instskip(NEXT) | instid1(VALU_DEP_1)
	v_cvt_f32_f16_e32 v9, v9
	v_cvt_f64_f32_e32 v[17:18], v9
	s_delay_alu instid0(VALU_DEP_1) | instskip(NEXT) | instid1(VALU_DEP_1)
	v_mul_f64_e32 v[17:18], s[12:13], v[17:18]
	v_and_or_b32 v9, 0x1ff, v18, v17
	v_lshrrev_b32_e32 v17, 8, v18
	v_bfe_u32 v27, v18, 20, 11
	s_delay_alu instid0(VALU_DEP_3) | instskip(SKIP_1) | instid1(VALU_DEP_1)
	v_cmp_ne_u32_e64 s0, 0, v9
	s_wait_alu 0xf1ff
	v_cndmask_b32_e64 v9, 0, 1, s0
	s_delay_alu instid0(VALU_DEP_1) | instskip(SKIP_1) | instid1(VALU_DEP_2)
	v_and_or_b32 v26, 0xffe, v17, v9
	v_sub_nc_u32_e32 v9, 0x3f1, v27
	v_or_b32_e32 v17, 0x1000, v26
	s_delay_alu instid0(VALU_DEP_2) | instskip(NEXT) | instid1(VALU_DEP_1)
	v_med3_i32 v9, v9, 0, 13
	v_lshrrev_b32_e32 v28, v9, v17
	s_delay_alu instid0(VALU_DEP_1) | instskip(NEXT) | instid1(VALU_DEP_1)
	v_lshlrev_b32_e32 v9, v9, v28
	v_cmp_ne_u32_e64 s0, v9, v17
	v_cvt_f64_f32_e32 v[9:10], v0
	s_delay_alu instid0(VALU_DEP_1) | instskip(NEXT) | instid1(VALU_DEP_1)
	v_mul_f64_e32 v[9:10], s[12:13], v[9:10]
	v_and_or_b32 v0, 0x1ff, v10, v9
	v_lshrrev_b32_e32 v9, 8, v10
	s_delay_alu instid0(VALU_DEP_2) | instskip(SKIP_1) | instid1(VALU_DEP_1)
	v_cmp_ne_u32_e64 s2, 0, v0
	s_wait_alu 0xf1ff
	v_cndmask_b32_e64 v0, 0, 1, s2
	s_delay_alu instid0(VALU_DEP_1) | instskip(SKIP_2) | instid1(VALU_DEP_3)
	v_and_or_b32 v0, 0xffe, v9, v0
	v_bfe_u32 v9, v10, 20, 11
	v_lshrrev_b32_e32 v10, 16, v10
	v_or_b32_e32 v29, 0x1000, v0
	s_delay_alu instid0(VALU_DEP_3) | instskip(SKIP_1) | instid1(VALU_DEP_2)
	v_sub_nc_u32_e32 v17, 0x3f1, v9
	v_add_nc_u32_e32 v9, 0xfffffc10, v9
	v_med3_i32 v17, v17, 0, 13
	s_delay_alu instid0(VALU_DEP_1) | instskip(NEXT) | instid1(VALU_DEP_1)
	v_lshrrev_b32_e32 v30, v17, v29
	v_lshlrev_b32_e32 v17, v17, v30
	s_delay_alu instid0(VALU_DEP_1) | instskip(SKIP_2) | instid1(VALU_DEP_2)
	v_cmp_ne_u32_e64 s2, v17, v29
	v_lshl_or_b32 v29, v9, 12, v0
	s_wait_alu 0xf1ff
	v_cndmask_b32_e64 v17, 0, 1, s2
	v_cmp_gt_i32_e64 s2, 1, v9
	s_delay_alu instid0(VALU_DEP_2) | instskip(SKIP_1) | instid1(VALU_DEP_1)
	v_or_b32_e32 v17, v30, v17
	s_wait_alu 0xf1ff
	v_cndmask_b32_e64 v17, v29, v17, s2
	s_delay_alu instid0(VALU_DEP_1) | instskip(SKIP_1) | instid1(VALU_DEP_2)
	v_and_b32_e32 v29, 7, v17
	v_lshrrev_b32_e32 v17, 2, v17
	v_cmp_lt_i32_e64 s2, 5, v29
	v_cmp_eq_u32_e64 s3, 3, v29
	s_wait_alu 0xfffd
	v_cndmask_b32_e64 v29, 0, 1, vcc_lo
	v_cmp_ne_u32_e32 vcc_lo, 0, v0
	v_add_nc_u32_e32 v0, 0xfffffc10, v20
	s_or_b32 s2, s3, s2
	s_delay_alu instid0(VALU_DEP_3)
	v_or_b32_e32 v21, v21, v29
	s_wait_alu 0xfffe
	v_add_co_ci_u32_e64 v17, s2, 0, v17, s2
	v_lshl_or_b32 v20, v0, 12, v4
	v_cmp_gt_i32_e64 s4, 1, v0
	v_cmp_gt_i32_e64 s2, 31, v9
	v_cmp_ne_u32_e64 s3, 0, v4
	s_wait_alu 0xf1ff
	s_delay_alu instid0(VALU_DEP_3)
	v_cndmask_b32_e64 v20, v20, v21, s4
	s_wait_alu 0xfffd
	v_cndmask_b32_e64 v21, 0, 1, vcc_lo
	v_cndmask_b32_e64 v17, 0x7c00, v17, s2
	v_cmp_eq_u32_e32 vcc_lo, 0x40f, v9
	v_lshrrev_b32_e32 v4, 2, v20
	s_delay_alu instid0(VALU_DEP_4) | instskip(SKIP_1) | instid1(VALU_DEP_1)
	v_lshl_or_b32 v21, v21, 9, 0x7c00
	s_wait_alu 0xfffd
	v_cndmask_b32_e32 v9, v17, v21, vcc_lo
	v_and_b32_e32 v17, 7, v20
	s_delay_alu instid0(VALU_DEP_1) | instskip(SKIP_2) | instid1(VALU_DEP_2)
	v_cmp_lt_i32_e32 vcc_lo, 5, v17
	v_cmp_eq_u32_e64 s2, 3, v17
	v_cndmask_b32_e64 v17, 0, 1, s3
	s_or_b32 vcc_lo, s2, vcc_lo
	s_delay_alu instid0(VALU_DEP_1) | instskip(SKIP_4) | instid1(VALU_DEP_2)
	v_lshl_or_b32 v17, v17, 9, 0x7c00
	s_wait_alu 0xfffe
	v_add_co_ci_u32_e32 v4, vcc_lo, 0, v4, vcc_lo
	v_cmp_gt_i32_e32 vcc_lo, 31, v0
	s_wait_alu 0xfffd
	v_cndmask_b32_e32 v4, 0x7c00, v4, vcc_lo
	v_cmp_eq_u32_e32 vcc_lo, 0x40f, v0
	s_wait_alu 0xfffd
	s_delay_alu instid0(VALU_DEP_2) | instskip(SKIP_2) | instid1(VALU_DEP_2)
	v_cndmask_b32_e32 v0, v4, v17, vcc_lo
	v_lshrrev_b32_e32 v4, 16, v5
	v_and_or_b32 v5, 0x8000, v10, v9
	v_and_or_b32 v0, 0x8000, v4, v0
	s_delay_alu instid0(VALU_DEP_2) | instskip(NEXT) | instid1(VALU_DEP_1)
	v_and_b32_e32 v4, 0xffff, v5
	v_lshl_or_b32 v0, v0, 16, v4
	ds_load_2addr_b32 v[4:5], v120 offset0:16 offset1:136
	global_store_b32 v[2:3], v0, off
	v_add_co_u32 v2, vcc_lo, v2, s10
	s_wait_alu 0xfffd
	v_add_co_ci_u32_e32 v3, vcc_lo, s11, v3, vcc_lo
	s_wait_dscnt 0x0
	v_lshrrev_b32_e32 v0, 16, v5
	v_mul_f16_e32 v9, v32, v5
	s_delay_alu instid0(VALU_DEP_1) | instskip(SKIP_1) | instid1(VALU_DEP_2)
	v_fma_f16 v9, v157, v0, -v9
	v_mul_f16_e32 v0, v32, v0
	v_cvt_f32_f16_e32 v9, v9
	s_delay_alu instid0(VALU_DEP_2) | instskip(NEXT) | instid1(VALU_DEP_2)
	v_fmac_f16_e64 v0, v157, v5
	v_cvt_f64_f32_e32 v[9:10], v9
	s_delay_alu instid0(VALU_DEP_2) | instskip(NEXT) | instid1(VALU_DEP_2)
	v_cvt_f32_f16_e32 v0, v0
	v_mul_f64_e32 v[9:10], s[12:13], v[9:10]
	s_delay_alu instid0(VALU_DEP_1) | instskip(SKIP_2) | instid1(VALU_DEP_3)
	v_and_or_b32 v9, 0x1ff, v10, v9
	v_lshrrev_b32_e32 v17, 8, v10
	v_bfe_u32 v29, v10, 20, 11
	v_cmp_ne_u32_e32 vcc_lo, 0, v9
	s_wait_alu 0xfffd
	v_cndmask_b32_e64 v9, 0, 1, vcc_lo
	s_delay_alu instid0(VALU_DEP_1) | instskip(SKIP_1) | instid1(VALU_DEP_2)
	v_and_or_b32 v9, 0xffe, v17, v9
	v_sub_nc_u32_e32 v17, 0x3f1, v29
	v_or_b32_e32 v20, 0x1000, v9
	s_delay_alu instid0(VALU_DEP_2) | instskip(NEXT) | instid1(VALU_DEP_1)
	v_med3_i32 v17, v17, 0, 13
	v_lshrrev_b32_e32 v30, v17, v20
	s_delay_alu instid0(VALU_DEP_1) | instskip(NEXT) | instid1(VALU_DEP_1)
	v_lshlrev_b32_e32 v17, v17, v30
	v_cmp_ne_u32_e32 vcc_lo, v17, v20
	v_mul_f16_e32 v17, v31, v19
	s_delay_alu instid0(VALU_DEP_1) | instskip(SKIP_1) | instid1(VALU_DEP_2)
	v_fmac_f16_e32 v17, v34, v7
	v_lshrrev_b32_e32 v34, 16, v159
	v_cvt_f32_f16_e32 v7, v17
	s_delay_alu instid0(VALU_DEP_1) | instskip(NEXT) | instid1(VALU_DEP_1)
	v_cvt_f64_f32_e32 v[19:20], v7
	v_mul_f64_e32 v[19:20], s[12:13], v[19:20]
	s_delay_alu instid0(VALU_DEP_1) | instskip(SKIP_1) | instid1(VALU_DEP_2)
	v_and_or_b32 v7, 0x1ff, v20, v19
	v_lshrrev_b32_e32 v17, 8, v20
	v_cmp_ne_u32_e64 s2, 0, v7
	s_wait_alu 0xf1ff
	s_delay_alu instid0(VALU_DEP_1) | instskip(NEXT) | instid1(VALU_DEP_1)
	v_cndmask_b32_e64 v7, 0, 1, s2
	v_and_or_b32 v7, 0xffe, v17, v7
	v_bfe_u32 v17, v20, 20, 11
	s_delay_alu instid0(VALU_DEP_2) | instskip(NEXT) | instid1(VALU_DEP_2)
	v_or_b32_e32 v21, 0x1000, v7
	v_sub_nc_u32_e32 v19, 0x3f1, v17
	v_add_nc_u32_e32 v17, 0xfffffc10, v17
	s_delay_alu instid0(VALU_DEP_2) | instskip(NEXT) | instid1(VALU_DEP_1)
	v_med3_i32 v19, v19, 0, 13
	v_lshrrev_b32_e32 v31, v19, v21
	s_delay_alu instid0(VALU_DEP_1) | instskip(NEXT) | instid1(VALU_DEP_1)
	v_lshlrev_b32_e32 v19, v19, v31
	v_cmp_ne_u32_e64 s2, v19, v21
	v_lshl_or_b32 v21, v17, 12, v7
	s_wait_alu 0xf1ff
	s_delay_alu instid0(VALU_DEP_2) | instskip(SKIP_1) | instid1(VALU_DEP_2)
	v_cndmask_b32_e64 v19, 0, 1, s2
	v_cmp_gt_i32_e64 s2, 1, v17
	v_or_b32_e32 v19, v31, v19
	s_wait_alu 0xf1ff
	s_delay_alu instid0(VALU_DEP_1) | instskip(NEXT) | instid1(VALU_DEP_1)
	v_cndmask_b32_e64 v19, v21, v19, s2
	v_and_b32_e32 v21, 7, v19
	v_lshrrev_b32_e32 v19, 2, v19
	s_delay_alu instid0(VALU_DEP_2) | instskip(SKIP_4) | instid1(VALU_DEP_4)
	v_cmp_lt_i32_e64 s2, 5, v21
	v_cmp_eq_u32_e64 s3, 3, v21
	v_cndmask_b32_e64 v21, 0, 1, s1
	v_cmp_ne_u32_e64 s1, 0, v7
	v_add_nc_u32_e32 v7, 0xfffffc10, v23
	s_or_b32 s2, s3, s2
	s_delay_alu instid0(VALU_DEP_3)
	v_or_b32_e32 v21, v24, v21
	s_wait_alu 0xfffe
	v_add_co_ci_u32_e64 v19, s2, 0, v19, s2
	v_lshl_or_b32 v23, v7, 12, v22
	v_cmp_gt_i32_e64 s4, 1, v7
	v_cmp_gt_i32_e64 s2, 31, v17
	v_cmp_ne_u32_e64 s3, 0, v22
	scratch_load_b32 v24, off, off offset:196 th:TH_LOAD_LU ; 4-byte Folded Reload
	s_wait_alu 0xf1ff
	v_cndmask_b32_e64 v21, v23, v21, s4
	v_cndmask_b32_e64 v23, 0, 1, s1
	;; [unrolled: 1-line block ×3, first 2 shown]
	v_cmp_eq_u32_e64 s1, 0x40f, v17
	s_delay_alu instid0(VALU_DEP_3) | instskip(SKIP_1) | instid1(VALU_DEP_1)
	v_lshl_or_b32 v23, v23, 9, 0x7c00
	s_wait_alu 0xf1ff
	v_cndmask_b32_e64 v17, v19, v23, s1
	v_lshrrev_b32_e32 v19, 16, v20
	v_and_b32_e32 v20, 7, v21
	s_delay_alu instid0(VALU_DEP_2) | instskip(NEXT) | instid1(VALU_DEP_2)
	v_and_or_b32 v17, 0x8000, v19, v17
	v_cmp_lt_i32_e64 s1, 5, v20
	v_cmp_eq_u32_e64 s2, 3, v20
	v_lshrrev_b32_e32 v20, 2, v21
	v_cndmask_b32_e64 v21, 0, 1, s3
	s_delay_alu instid0(VALU_DEP_3) | instskip(SKIP_1) | instid1(VALU_DEP_2)
	s_or_b32 s1, s2, s1
	s_wait_alu 0xfffe
	v_add_co_ci_u32_e64 v20, s1, 0, v20, s1
	v_cmp_gt_i32_e64 s1, 31, v7
	v_lshl_or_b32 v21, v21, 9, 0x7c00
	s_wait_alu 0xf1ff
	s_delay_alu instid0(VALU_DEP_2) | instskip(SKIP_2) | instid1(VALU_DEP_1)
	v_cndmask_b32_e64 v20, 0x7c00, v20, s1
	v_cmp_eq_u32_e64 s1, 0x40f, v7
	s_wait_alu 0xf1ff
	v_cndmask_b32_e64 v7, v20, v21, s1
	s_delay_alu instid0(VALU_DEP_1) | instskip(SKIP_1) | instid1(VALU_DEP_1)
	v_and_or_b32 v7, 0x8000, v16, v7
	v_and_b32_e32 v16, 0xffff, v17
	v_lshl_or_b32 v7, v7, 16, v16
	global_store_b32 v[2:3], v7, off
	v_mul_f16_e32 v7, v33, v25
	v_add_co_u32 v2, s1, v2, s10
	s_wait_alu 0xf1ff
	v_add_co_ci_u32_e64 v3, s1, s11, v3, s1
	s_delay_alu instid0(VALU_DEP_3) | instskip(NEXT) | instid1(VALU_DEP_1)
	v_fmac_f16_e64 v7, v151, v14
	v_cvt_f32_f16_e32 v7, v7
	s_delay_alu instid0(VALU_DEP_1) | instskip(NEXT) | instid1(VALU_DEP_1)
	v_cvt_f64_f32_e32 v[16:17], v7
	v_mul_f64_e32 v[16:17], s[12:13], v[16:17]
	s_delay_alu instid0(VALU_DEP_1) | instskip(SKIP_1) | instid1(VALU_DEP_2)
	v_and_or_b32 v7, 0x1ff, v17, v16
	v_lshrrev_b32_e32 v14, 8, v17
	v_cmp_ne_u32_e64 s1, 0, v7
	s_wait_alu 0xf1ff
	s_delay_alu instid0(VALU_DEP_1) | instskip(NEXT) | instid1(VALU_DEP_1)
	v_cndmask_b32_e64 v7, 0, 1, s1
	v_and_or_b32 v7, 0xffe, v14, v7
	v_bfe_u32 v14, v17, 20, 11
	s_delay_alu instid0(VALU_DEP_2) | instskip(NEXT) | instid1(VALU_DEP_2)
	v_or_b32_e32 v19, 0x1000, v7
	v_sub_nc_u32_e32 v16, 0x3f1, v14
	v_add_nc_u32_e32 v14, 0xfffffc10, v14
	s_delay_alu instid0(VALU_DEP_2) | instskip(NEXT) | instid1(VALU_DEP_1)
	v_med3_i32 v16, v16, 0, 13
	v_lshrrev_b32_e32 v20, v16, v19
	s_delay_alu instid0(VALU_DEP_1) | instskip(NEXT) | instid1(VALU_DEP_1)
	v_lshlrev_b32_e32 v16, v16, v20
	v_cmp_ne_u32_e64 s1, v16, v19
	v_lshl_or_b32 v19, v14, 12, v7
	s_wait_alu 0xf1ff
	s_delay_alu instid0(VALU_DEP_2) | instskip(SKIP_1) | instid1(VALU_DEP_2)
	v_cndmask_b32_e64 v16, 0, 1, s1
	v_cmp_gt_i32_e64 s1, 1, v14
	v_or_b32_e32 v16, v20, v16
	s_wait_alu 0xf1ff
	s_delay_alu instid0(VALU_DEP_1) | instskip(NEXT) | instid1(VALU_DEP_1)
	v_cndmask_b32_e64 v16, v19, v16, s1
	v_and_b32_e32 v19, 7, v16
	v_lshrrev_b32_e32 v16, 2, v16
	s_delay_alu instid0(VALU_DEP_2) | instskip(SKIP_4) | instid1(VALU_DEP_4)
	v_cmp_lt_i32_e64 s1, 5, v19
	v_cmp_eq_u32_e64 s2, 3, v19
	v_cndmask_b32_e64 v19, 0, 1, s0
	v_cmp_ne_u32_e64 s0, 0, v7
	v_add_nc_u32_e32 v7, 0xfffffc10, v27
	s_or_b32 s1, s2, s1
	s_delay_alu instid0(VALU_DEP_3)
	v_or_b32_e32 v19, v28, v19
	s_wait_alu 0xfffe
	v_add_co_ci_u32_e64 v16, s1, 0, v16, s1
	v_lshl_or_b32 v20, v7, 12, v26
	v_cmp_gt_i32_e64 s3, 1, v7
	v_cmp_gt_i32_e64 s1, 31, v14
	v_cmp_ne_u32_e64 s2, 0, v26
	s_wait_alu 0xf1ff
	s_delay_alu instid0(VALU_DEP_3) | instskip(SKIP_3) | instid1(VALU_DEP_3)
	v_cndmask_b32_e64 v19, v20, v19, s3
	v_cndmask_b32_e64 v20, 0, 1, s0
	;; [unrolled: 1-line block ×3, first 2 shown]
	v_cmp_eq_u32_e64 s0, 0x40f, v14
	v_lshl_or_b32 v20, v20, 9, 0x7c00
	s_wait_alu 0xf1ff
	s_delay_alu instid0(VALU_DEP_1) | instskip(SKIP_1) | instid1(VALU_DEP_1)
	v_cndmask_b32_e64 v14, v16, v20, s0
	v_and_b32_e32 v16, 7, v19
	v_cmp_lt_i32_e64 s0, 5, v16
	v_cmp_eq_u32_e64 s1, 3, v16
	v_lshrrev_b32_e32 v16, 16, v17
	v_lshrrev_b32_e32 v17, 2, v19
	v_cndmask_b32_e64 v19, 0, 1, s2
	s_delay_alu instid0(VALU_DEP_4) | instskip(NEXT) | instid1(VALU_DEP_3)
	s_or_b32 s0, s1, s0
	v_and_or_b32 v14, 0x8000, v16, v14
	s_wait_alu 0xfffe
	v_add_co_ci_u32_e64 v17, s0, 0, v17, s0
	v_cmp_gt_i32_e64 s0, 31, v7
	v_lshl_or_b32 v19, v19, 9, 0x7c00
	v_and_b32_e32 v14, 0xffff, v14
	s_wait_alu 0xf1ff
	s_delay_alu instid0(VALU_DEP_3) | instskip(SKIP_2) | instid1(VALU_DEP_1)
	v_cndmask_b32_e64 v17, 0x7c00, v17, s0
	v_cmp_eq_u32_e64 s0, 0x40f, v7
	s_wait_alu 0xf1ff
	v_cndmask_b32_e64 v7, v17, v19, s0
	v_lshrrev_b32_e32 v17, 16, v18
	v_add_co_u32 v19, s0, v2, s10
	s_wait_alu 0xf1ff
	v_add_co_ci_u32_e64 v20, s0, s11, v3, s0
	s_delay_alu instid0(VALU_DEP_3)
	v_and_or_b32 v7, 0x8000, v17, v7
	ds_load_2addr_b32 v[17:18], v139 offset0:112 offset1:232
	v_lshl_or_b32 v7, v7, 16, v14
	global_store_b32 v[2:3], v7, off
	s_wait_dscnt 0x0
	v_lshrrev_b32_e32 v7, 16, v17
	v_mul_f16_e32 v2, v34, v17
	s_delay_alu instid0(VALU_DEP_1) | instskip(NEXT) | instid1(VALU_DEP_1)
	v_fma_f16 v2, v159, v7, -v2
	v_cvt_f32_f16_e32 v2, v2
	s_delay_alu instid0(VALU_DEP_1) | instskip(SKIP_3) | instid1(VALU_DEP_3)
	v_cvt_f64_f32_e32 v[2:3], v2
	s_wait_loadcnt 0x0
	v_lshrrev_b32_e32 v36, 16, v24
	v_mov_b32_e32 v39, v24
	v_mul_f64_e32 v[21:22], s[12:13], v[2:3]
	s_delay_alu instid0(VALU_DEP_1) | instskip(SKIP_2) | instid1(VALU_DEP_3)
	v_and_or_b32 v2, 0x1ff, v22, v21
	v_lshrrev_b32_e32 v3, 8, v22
	v_bfe_u32 v16, v22, 20, 11
	v_cmp_ne_u32_e64 s0, 0, v2
	s_wait_alu 0xf1ff
	s_delay_alu instid0(VALU_DEP_1) | instskip(NEXT) | instid1(VALU_DEP_1)
	v_cndmask_b32_e64 v2, 0, 1, s0
	v_and_or_b32 v14, 0xffe, v3, v2
	v_sub_nc_u32_e32 v2, 0x3f1, v16
	s_delay_alu instid0(VALU_DEP_2) | instskip(NEXT) | instid1(VALU_DEP_2)
	v_or_b32_e32 v3, 0x1000, v14
	v_med3_i32 v2, v2, 0, 13
	s_delay_alu instid0(VALU_DEP_1) | instskip(NEXT) | instid1(VALU_DEP_1)
	v_lshrrev_b32_e32 v21, v2, v3
	v_lshlrev_b32_e32 v2, v2, v21
	s_delay_alu instid0(VALU_DEP_1) | instskip(SKIP_4) | instid1(VALU_DEP_1)
	v_cmp_ne_u32_e64 s1, v2, v3
	ds_load_2addr_b32 v[2:3], v133 offset0:96 offset1:216
	s_wait_dscnt 0x0
	v_lshrrev_b32_e32 v27, 16, v3
	v_mul_f16_e32 v23, v36, v3
	v_fma_f16 v23, v24, v27, -v23
	s_delay_alu instid0(VALU_DEP_1) | instskip(NEXT) | instid1(VALU_DEP_1)
	v_cvt_f32_f16_e32 v23, v23
	v_cvt_f64_f32_e32 v[23:24], v23
	s_delay_alu instid0(VALU_DEP_1) | instskip(NEXT) | instid1(VALU_DEP_1)
	v_mul_f64_e32 v[23:24], s[12:13], v[23:24]
	v_and_or_b32 v23, 0x1ff, v24, v23
	v_lshrrev_b32_e32 v25, 8, v24
	v_bfe_u32 v28, v24, 20, 11
	s_delay_alu instid0(VALU_DEP_3) | instskip(SKIP_1) | instid1(VALU_DEP_1)
	v_cmp_ne_u32_e64 s0, 0, v23
	s_wait_alu 0xf1ff
	v_cndmask_b32_e64 v23, 0, 1, s0
	s_delay_alu instid0(VALU_DEP_1) | instskip(SKIP_1) | instid1(VALU_DEP_2)
	v_and_or_b32 v23, 0xffe, v25, v23
	v_sub_nc_u32_e32 v25, 0x3f1, v28
	v_or_b32_e32 v26, 0x1000, v23
	s_delay_alu instid0(VALU_DEP_2) | instskip(NEXT) | instid1(VALU_DEP_1)
	v_med3_i32 v25, v25, 0, 13
	v_lshrrev_b32_e32 v31, v25, v26
	s_delay_alu instid0(VALU_DEP_1) | instskip(NEXT) | instid1(VALU_DEP_1)
	v_lshlrev_b32_e32 v25, v25, v31
	v_cmp_ne_u32_e64 s0, v25, v26
	v_cvt_f64_f32_e32 v[25:26], v0
	s_delay_alu instid0(VALU_DEP_1) | instskip(NEXT) | instid1(VALU_DEP_1)
	v_mul_f64_e32 v[25:26], s[12:13], v[25:26]
	v_and_or_b32 v0, 0x1ff, v26, v25
	v_lshrrev_b32_e32 v5, 8, v26
	s_delay_alu instid0(VALU_DEP_2) | instskip(SKIP_1) | instid1(VALU_DEP_1)
	v_cmp_ne_u32_e64 s2, 0, v0
	s_wait_alu 0xf1ff
	v_cndmask_b32_e64 v0, 0, 1, s2
	s_delay_alu instid0(VALU_DEP_1) | instskip(SKIP_1) | instid1(VALU_DEP_2)
	v_and_or_b32 v0, 0xffe, v5, v0
	v_bfe_u32 v5, v26, 20, 11
	v_or_b32_e32 v32, 0x1000, v0
	s_delay_alu instid0(VALU_DEP_2) | instskip(SKIP_1) | instid1(VALU_DEP_2)
	v_sub_nc_u32_e32 v25, 0x3f1, v5
	v_add_nc_u32_e32 v5, 0xfffffc10, v5
	v_med3_i32 v25, v25, 0, 13
	s_delay_alu instid0(VALU_DEP_1) | instskip(NEXT) | instid1(VALU_DEP_1)
	v_lshrrev_b32_e32 v33, v25, v32
	v_lshlrev_b32_e32 v25, v25, v33
	s_delay_alu instid0(VALU_DEP_1) | instskip(SKIP_2) | instid1(VALU_DEP_2)
	v_cmp_ne_u32_e64 s2, v25, v32
	v_lshl_or_b32 v32, v5, 12, v0
	s_wait_alu 0xf1ff
	v_cndmask_b32_e64 v25, 0, 1, s2
	v_cmp_gt_i32_e64 s2, 1, v5
	s_delay_alu instid0(VALU_DEP_2) | instskip(SKIP_3) | instid1(VALU_DEP_1)
	v_or_b32_e32 v25, v33, v25
	scratch_load_b32 v33, off, off offset:164 th:TH_LOAD_LU ; 4-byte Folded Reload
	s_wait_alu 0xf1ff
	v_cndmask_b32_e64 v25, v32, v25, s2
	v_and_b32_e32 v32, 7, v25
	v_lshrrev_b32_e32 v25, 2, v25
	s_delay_alu instid0(VALU_DEP_2)
	v_cmp_lt_i32_e64 s2, 5, v32
	v_cmp_eq_u32_e64 s3, 3, v32
	s_wait_alu 0xfffd
	v_cndmask_b32_e64 v32, 0, 1, vcc_lo
	v_cmp_ne_u32_e32 vcc_lo, 0, v0
	v_add_nc_u32_e32 v0, 0xfffffc10, v29
	s_or_b32 s2, s3, s2
	s_delay_alu instid0(VALU_DEP_3)
	v_or_b32_e32 v30, v30, v32
	s_wait_alu 0xfffe
	v_add_co_ci_u32_e64 v25, s2, 0, v25, s2
	v_lshl_or_b32 v29, v0, 12, v9
	v_cmp_gt_i32_e64 s4, 1, v0
	v_cmp_gt_i32_e64 s2, 31, v5
	v_cmp_ne_u32_e64 s3, 0, v9
	s_wait_alu 0xf1ff
	s_delay_alu instid0(VALU_DEP_3)
	v_cndmask_b32_e64 v29, v29, v30, s4
	s_wait_alu 0xfffd
	v_cndmask_b32_e64 v30, 0, 1, vcc_lo
	v_cndmask_b32_e64 v25, 0x7c00, v25, s2
	v_cmp_eq_u32_e32 vcc_lo, 0x40f, v5
	v_lshrrev_b32_e32 v9, 2, v29
	s_delay_alu instid0(VALU_DEP_4) | instskip(SKIP_1) | instid1(VALU_DEP_1)
	v_lshl_or_b32 v30, v30, 9, 0x7c00
	s_wait_alu 0xfffd
	v_cndmask_b32_e32 v5, v25, v30, vcc_lo
	v_lshrrev_b32_e32 v25, 16, v26
	v_and_b32_e32 v26, 7, v29
	s_delay_alu instid0(VALU_DEP_2)
	v_and_or_b32 v5, 0x8000, v25, v5
	scratch_load_b32 v25, off, off offset:176 th:TH_LOAD_LU ; 4-byte Folded Reload
	v_cmp_lt_i32_e32 vcc_lo, 5, v26
	v_cmp_eq_u32_e64 s2, 3, v26
	v_cndmask_b32_e64 v26, 0, 1, s3
	v_and_b32_e32 v5, 0xffff, v5
	s_delay_alu instid0(VALU_DEP_3) | instskip(NEXT) | instid1(VALU_DEP_2)
	s_or_b32 vcc_lo, s2, vcc_lo
	v_lshl_or_b32 v26, v26, 9, 0x7c00
	s_wait_alu 0xfffe
	v_add_co_ci_u32_e32 v9, vcc_lo, 0, v9, vcc_lo
	v_cmp_gt_i32_e32 vcc_lo, 31, v0
	s_wait_alu 0xfffd
	s_delay_alu instid0(VALU_DEP_2) | instskip(SKIP_2) | instid1(VALU_DEP_2)
	v_cndmask_b32_e32 v9, 0x7c00, v9, vcc_lo
	v_cmp_eq_u32_e32 vcc_lo, 0x40f, v0
	s_wait_alu 0xfffd
	v_cndmask_b32_e32 v0, v9, v26, vcc_lo
	v_lshrrev_b32_e32 v9, 16, v10
	s_delay_alu instid0(VALU_DEP_1) | instskip(SKIP_3) | instid1(VALU_DEP_3)
	v_and_or_b32 v0, 0x8000, v9, v0
	v_add_co_u32 v9, vcc_lo, v19, s10
	s_wait_alu 0xfffd
	v_add_co_ci_u32_e32 v10, vcc_lo, s11, v20, vcc_lo
	v_lshl_or_b32 v0, v0, 16, v5
	global_store_b32 v[19:20], v0, off
	ds_load_2addr_b32 v[19:20], v145 offset0:64 offset1:184
	s_wait_dscnt 0x0
	v_lshrrev_b32_e32 v5, 16, v19
	s_wait_loadcnt 0x0
	v_lshrrev_b32_e32 v37, 16, v25
	v_mov_b32_e32 v38, v25
	s_delay_alu instid0(VALU_DEP_2) | instskip(NEXT) | instid1(VALU_DEP_1)
	v_mul_f16_e32 v0, v37, v19
	v_fma_f16 v0, v25, v5, -v0
	v_mul_f16_e32 v5, v37, v5
	s_delay_alu instid0(VALU_DEP_2) | instskip(NEXT) | instid1(VALU_DEP_2)
	v_cvt_f32_f16_e32 v0, v0
	v_fmac_f16_e32 v5, v38, v19
	s_delay_alu instid0(VALU_DEP_2) | instskip(NEXT) | instid1(VALU_DEP_2)
	v_cvt_f64_f32_e32 v[25:26], v0
	v_cvt_f32_f16_e32 v5, v5
	s_delay_alu instid0(VALU_DEP_2) | instskip(NEXT) | instid1(VALU_DEP_1)
	v_mul_f64_e32 v[25:26], s[12:13], v[25:26]
	v_and_or_b32 v0, 0x1ff, v26, v25
	v_lshrrev_b32_e32 v25, 8, v26
	v_bfe_u32 v29, v26, 20, 11
	s_delay_alu instid0(VALU_DEP_3) | instskip(SKIP_2) | instid1(VALU_DEP_1)
	v_cmp_ne_u32_e32 vcc_lo, 0, v0
	s_wait_alu 0xfffd
	v_cndmask_b32_e64 v0, 0, 1, vcc_lo
	v_and_or_b32 v25, 0xffe, v25, v0
	v_sub_nc_u32_e32 v0, 0x3f1, v29
	s_delay_alu instid0(VALU_DEP_2) | instskip(NEXT) | instid1(VALU_DEP_2)
	v_or_b32_e32 v30, 0x1000, v25
	v_med3_i32 v0, v0, 0, 13
	s_delay_alu instid0(VALU_DEP_1) | instskip(NEXT) | instid1(VALU_DEP_1)
	v_lshrrev_b32_e32 v32, v0, v30
	v_lshlrev_b32_e32 v0, v0, v32
	s_delay_alu instid0(VALU_DEP_1) | instskip(SKIP_1) | instid1(VALU_DEP_1)
	v_cmp_ne_u32_e32 vcc_lo, v0, v30
	v_lshrrev_b32_e32 v0, 16, v1
	v_mul_f16_e32 v30, v33, v0
	v_mul_f16_e32 v33, v33, v1
	s_delay_alu instid0(VALU_DEP_2) | instskip(NEXT) | instid1(VALU_DEP_2)
	v_fmac_f16_e32 v30, v35, v1
	v_fma_f16 v33, v35, v0, -v33
	v_mul_f16_e32 v0, v34, v7
	s_delay_alu instid0(VALU_DEP_1) | instskip(NEXT) | instid1(VALU_DEP_1)
	v_fmac_f16_e64 v0, v159, v17
	v_cvt_f32_f16_e32 v0, v0
	s_delay_alu instid0(VALU_DEP_1) | instskip(NEXT) | instid1(VALU_DEP_1)
	v_cvt_f64_f32_e32 v[0:1], v0
	v_mul_f64_e32 v[0:1], s[12:13], v[0:1]
	s_delay_alu instid0(VALU_DEP_1) | instskip(SKIP_1) | instid1(VALU_DEP_2)
	v_and_or_b32 v0, 0x1ff, v1, v0
	v_lshrrev_b32_e32 v7, 8, v1
	v_cmp_ne_u32_e64 s2, 0, v0
	s_wait_alu 0xf1ff
	s_delay_alu instid0(VALU_DEP_1) | instskip(NEXT) | instid1(VALU_DEP_1)
	v_cndmask_b32_e64 v0, 0, 1, s2
	v_and_or_b32 v0, 0xffe, v7, v0
	v_bfe_u32 v7, v1, 20, 11
	v_lshrrev_b32_e32 v1, 16, v1
	s_delay_alu instid0(VALU_DEP_3) | instskip(NEXT) | instid1(VALU_DEP_3)
	v_or_b32_e32 v34, 0x1000, v0
	v_sub_nc_u32_e32 v17, 0x3f1, v7
	v_add_nc_u32_e32 v7, 0xfffffc10, v7
	s_delay_alu instid0(VALU_DEP_2) | instskip(NEXT) | instid1(VALU_DEP_1)
	v_med3_i32 v17, v17, 0, 13
	v_lshrrev_b32_e32 v35, v17, v34
	s_delay_alu instid0(VALU_DEP_1) | instskip(NEXT) | instid1(VALU_DEP_1)
	v_lshlrev_b32_e32 v17, v17, v35
	v_cmp_ne_u32_e64 s2, v17, v34
	v_lshl_or_b32 v34, v7, 12, v0
	s_wait_alu 0xf1ff
	s_delay_alu instid0(VALU_DEP_2) | instskip(SKIP_1) | instid1(VALU_DEP_2)
	v_cndmask_b32_e64 v17, 0, 1, s2
	v_cmp_gt_i32_e64 s2, 1, v7
	v_or_b32_e32 v17, v35, v17
	s_wait_alu 0xf1ff
	s_delay_alu instid0(VALU_DEP_1) | instskip(NEXT) | instid1(VALU_DEP_1)
	v_cndmask_b32_e64 v17, v34, v17, s2
	v_and_b32_e32 v34, 7, v17
	v_lshrrev_b32_e32 v17, 2, v17
	s_delay_alu instid0(VALU_DEP_2) | instskip(SKIP_4) | instid1(VALU_DEP_4)
	v_cmp_lt_i32_e64 s2, 5, v34
	v_cmp_eq_u32_e64 s3, 3, v34
	v_cndmask_b32_e64 v34, 0, 1, s1
	v_cmp_ne_u32_e64 s1, 0, v0
	v_add_nc_u32_e32 v0, 0xfffffc10, v16
	s_or_b32 s2, s3, s2
	s_delay_alu instid0(VALU_DEP_3)
	v_or_b32_e32 v21, v21, v34
	s_wait_alu 0xfffe
	v_add_co_ci_u32_e64 v17, s2, 0, v17, s2
	v_lshl_or_b32 v16, v0, 12, v14
	v_cmp_gt_i32_e64 s4, 1, v0
	v_cmp_gt_i32_e64 s2, 31, v7
	v_cmp_ne_u32_e64 s3, 0, v14
	s_wait_alu 0xf1ff
	s_delay_alu instid0(VALU_DEP_3) | instskip(SKIP_3) | instid1(VALU_DEP_4)
	v_cndmask_b32_e64 v16, v16, v21, s4
	v_cndmask_b32_e64 v21, 0, 1, s1
	;; [unrolled: 1-line block ×3, first 2 shown]
	v_cmp_eq_u32_e64 s1, 0x40f, v7
	v_lshrrev_b32_e32 v14, 2, v16
	s_delay_alu instid0(VALU_DEP_4) | instskip(SKIP_1) | instid1(VALU_DEP_1)
	v_lshl_or_b32 v21, v21, 9, 0x7c00
	s_wait_alu 0xf1ff
	v_cndmask_b32_e64 v7, v17, v21, s1
	v_and_b32_e32 v17, 7, v16
	v_cndmask_b32_e64 v16, 0, 1, s3
	s_delay_alu instid0(VALU_DEP_3) | instskip(NEXT) | instid1(VALU_DEP_3)
	v_and_or_b32 v1, 0x8000, v1, v7
	v_cmp_lt_i32_e64 s1, 5, v17
	v_cmp_eq_u32_e64 s2, 3, v17
	s_delay_alu instid0(VALU_DEP_4) | instskip(SKIP_2) | instid1(VALU_DEP_4)
	v_lshl_or_b32 v16, v16, 9, 0x7c00
	v_mul_f16_e32 v7, v36, v27
	v_and_b32_e32 v1, 0xffff, v1
	s_or_b32 s1, s2, s1
	s_wait_alu 0xfffe
	v_add_co_ci_u32_e64 v14, s1, 0, v14, s1
	v_cmp_gt_i32_e64 s1, 31, v0
	v_fmac_f16_e32 v7, v39, v3
	s_wait_alu 0xf1ff
	s_delay_alu instid0(VALU_DEP_2) | instskip(SKIP_1) | instid1(VALU_DEP_3)
	v_cndmask_b32_e64 v14, 0x7c00, v14, s1
	v_cmp_eq_u32_e64 s1, 0x40f, v0
	v_cvt_f32_f16_e32 v3, v7
	s_wait_alu 0xf1ff
	s_delay_alu instid0(VALU_DEP_2) | instskip(SKIP_1) | instid1(VALU_DEP_1)
	v_cndmask_b32_e64 v0, v14, v16, s1
	v_lshrrev_b32_e32 v14, 16, v22
	v_and_or_b32 v0, 0x8000, v14, v0
	s_delay_alu instid0(VALU_DEP_1)
	v_lshl_or_b32 v0, v0, 16, v1
	global_store_b32 v[9:10], v0, off
	v_add_co_u32 v0, s1, v9, s10
	s_wait_alu 0xf1ff
	v_add_co_ci_u32_e64 v1, s1, s11, v10, s1
	v_cvt_f64_f32_e32 v[9:10], v3
	s_delay_alu instid0(VALU_DEP_1) | instskip(NEXT) | instid1(VALU_DEP_1)
	v_mul_f64_e32 v[9:10], s[12:13], v[9:10]
	v_and_or_b32 v3, 0x1ff, v10, v9
	v_lshrrev_b32_e32 v7, 8, v10
	s_delay_alu instid0(VALU_DEP_2) | instskip(SKIP_1) | instid1(VALU_DEP_1)
	v_cmp_ne_u32_e64 s1, 0, v3
	s_wait_alu 0xf1ff
	v_cndmask_b32_e64 v3, 0, 1, s1
	s_delay_alu instid0(VALU_DEP_1) | instskip(SKIP_1) | instid1(VALU_DEP_2)
	v_and_or_b32 v3, 0xffe, v7, v3
	v_bfe_u32 v7, v10, 20, 11
	v_or_b32_e32 v14, 0x1000, v3
	s_delay_alu instid0(VALU_DEP_2) | instskip(SKIP_2) | instid1(VALU_DEP_3)
	v_sub_nc_u32_e32 v9, 0x3f1, v7
	v_add_nc_u32_e32 v7, 0xfffffc10, v7
	v_cmp_ne_u32_e64 s3, 0, v3
	v_med3_i32 v9, v9, 0, 13
	s_delay_alu instid0(VALU_DEP_1) | instskip(NEXT) | instid1(VALU_DEP_1)
	v_lshrrev_b32_e32 v16, v9, v14
	v_lshlrev_b32_e32 v9, v9, v16
	s_delay_alu instid0(VALU_DEP_1) | instskip(SKIP_3) | instid1(VALU_DEP_3)
	v_cmp_ne_u32_e64 s1, v9, v14
	v_lshl_or_b32 v14, v7, 12, v3
	v_cndmask_b32_e64 v3, 0, 1, s0
	s_wait_alu 0xf1ff
	v_cndmask_b32_e64 v9, 0, 1, s1
	v_cmp_gt_i32_e64 s1, 1, v7
	s_delay_alu instid0(VALU_DEP_3) | instskip(NEXT) | instid1(VALU_DEP_3)
	v_or_b32_e32 v3, v31, v3
	v_or_b32_e32 v9, v16, v9
	s_wait_alu 0xf1ff
	s_delay_alu instid0(VALU_DEP_1) | instskip(NEXT) | instid1(VALU_DEP_1)
	v_cndmask_b32_e64 v9, v14, v9, s1
	v_and_b32_e32 v14, 7, v9
	v_lshrrev_b32_e32 v9, 2, v9
	s_delay_alu instid0(VALU_DEP_2) | instskip(SKIP_2) | instid1(VALU_DEP_1)
	v_cmp_lt_i32_e64 s1, 5, v14
	v_cmp_eq_u32_e64 s2, 3, v14
	v_add_nc_u32_e32 v14, 0xfffffc10, v28
	v_lshl_or_b32 v16, v14, 12, v23
	v_cmp_gt_i32_e64 s0, 1, v14
	s_wait_alu 0xf1ff
	s_delay_alu instid0(VALU_DEP_1)
	v_cndmask_b32_e64 v3, v16, v3, s0
	s_or_b32 s0, s2, s1
	v_cndmask_b32_e64 v16, 0, 1, s3
	s_wait_alu 0xfffe
	v_add_co_ci_u32_e64 v9, s0, 0, v9, s0
	v_cmp_gt_i32_e64 s0, 31, v7
	v_cmp_ne_u32_e64 s2, 0, v23
	v_lshl_or_b32 v16, v16, 9, 0x7c00
	s_wait_alu 0xf1ff
	s_delay_alu instid0(VALU_DEP_3) | instskip(SKIP_2) | instid1(VALU_DEP_1)
	v_cndmask_b32_e64 v9, 0x7c00, v9, s0
	v_cmp_eq_u32_e64 s0, 0x40f, v7
	s_wait_alu 0xf1ff
	v_cndmask_b32_e64 v7, v9, v16, s0
	v_lshrrev_b32_e32 v9, 16, v10
	v_and_b32_e32 v10, 7, v3
	v_lshrrev_b32_e32 v3, 2, v3
	s_delay_alu instid0(VALU_DEP_3) | instskip(NEXT) | instid1(VALU_DEP_3)
	v_and_or_b32 v7, 0x8000, v9, v7
	v_cmp_lt_i32_e64 s0, 5, v10
	v_cmp_eq_u32_e64 s1, 3, v10
	v_cndmask_b32_e64 v10, 0, 1, s2
	s_delay_alu instid0(VALU_DEP_4) | instskip(NEXT) | instid1(VALU_DEP_3)
	v_and_b32_e32 v7, 0xffff, v7
	s_or_b32 s0, s1, s0
	s_delay_alu instid0(VALU_DEP_2) | instskip(SKIP_4) | instid1(VALU_DEP_1)
	v_lshl_or_b32 v10, v10, 9, 0x7c00
	s_wait_alu 0xfffe
	v_add_co_ci_u32_e64 v3, s0, 0, v3, s0
	v_cmp_gt_i32_e64 s0, 31, v14
	s_wait_alu 0xf1ff
	v_cndmask_b32_e64 v3, 0x7c00, v3, s0
	v_cmp_eq_u32_e64 s0, 0x40f, v14
	s_wait_alu 0xf1ff
	s_delay_alu instid0(VALU_DEP_1) | instskip(SKIP_2) | instid1(VALU_DEP_2)
	v_cndmask_b32_e64 v3, v3, v10, s0
	v_lshrrev_b32_e32 v10, 16, v24
	v_add_co_u32 v9, s0, v0, s10
	v_and_or_b32 v3, 0x8000, v10, v3
	s_wait_alu 0xf1ff
	v_add_co_ci_u32_e64 v10, s0, s11, v1, s0
	s_delay_alu instid0(VALU_DEP_2)
	v_lshl_or_b32 v3, v3, 16, v7
	global_store_b32 v[0:1], v3, off
	ds_load_2addr_b32 v[0:1], v141 offset0:48 offset1:168
	s_wait_dscnt 0x0
	v_lshrrev_b32_e32 v3, 16, v1
	v_mul_f16_e32 v7, v42, v1
	s_delay_alu instid0(VALU_DEP_1) | instskip(SKIP_1) | instid1(VALU_DEP_2)
	v_fma_f16 v7, v41, v3, -v7
	v_mul_f16_e32 v3, v42, v3
	v_cvt_f32_f16_e32 v7, v7
	s_delay_alu instid0(VALU_DEP_2) | instskip(NEXT) | instid1(VALU_DEP_2)
	v_fmac_f16_e32 v3, v41, v1
	v_cvt_f64_f32_e32 v[16:17], v7
	s_delay_alu instid0(VALU_DEP_2) | instskip(NEXT) | instid1(VALU_DEP_2)
	v_cvt_f32_f16_e32 v1, v3
	v_mul_f64_e32 v[21:22], s[12:13], v[16:17]
	s_delay_alu instid0(VALU_DEP_1) | instskip(SKIP_2) | instid1(VALU_DEP_3)
	v_and_or_b32 v7, 0x1ff, v22, v21
	v_lshrrev_b32_e32 v14, 8, v22
	v_bfe_u32 v21, v22, 20, 11
	v_cmp_ne_u32_e64 s0, 0, v7
	s_wait_alu 0xf1ff
	s_delay_alu instid0(VALU_DEP_1) | instskip(NEXT) | instid1(VALU_DEP_1)
	v_cndmask_b32_e64 v7, 0, 1, s0
	v_and_or_b32 v7, 0xffe, v14, v7
	v_sub_nc_u32_e32 v14, 0x3f1, v21
	s_delay_alu instid0(VALU_DEP_2) | instskip(NEXT) | instid1(VALU_DEP_2)
	v_or_b32_e32 v16, 0x1000, v7
	v_med3_i32 v14, v14, 0, 13
	s_delay_alu instid0(VALU_DEP_1) | instskip(NEXT) | instid1(VALU_DEP_1)
	v_lshrrev_b32_e32 v31, v14, v16
	v_lshlrev_b32_e32 v14, v14, v31
	s_delay_alu instid0(VALU_DEP_1) | instskip(SKIP_1) | instid1(VALU_DEP_1)
	v_cmp_ne_u32_e64 s3, v14, v16
	v_cvt_f32_f16_e32 v14, v30
	v_cvt_f64_f32_e32 v[16:17], v14
	s_delay_alu instid0(VALU_DEP_1) | instskip(NEXT) | instid1(VALU_DEP_1)
	v_mul_f64_e32 v[23:24], s[12:13], v[16:17]
	v_and_or_b32 v14, 0x1ff, v24, v23
	v_lshrrev_b32_e32 v16, 8, v24
	v_bfe_u32 v34, v24, 20, 11
	s_delay_alu instid0(VALU_DEP_3) | instskip(SKIP_1) | instid1(VALU_DEP_1)
	v_cmp_ne_u32_e64 s0, 0, v14
	s_wait_alu 0xf1ff
	v_cndmask_b32_e64 v14, 0, 1, s0
	s_delay_alu instid0(VALU_DEP_1) | instskip(SKIP_1) | instid1(VALU_DEP_2)
	v_and_or_b32 v23, 0xffe, v16, v14
	v_sub_nc_u32_e32 v14, 0x3f1, v34
	v_or_b32_e32 v16, 0x1000, v23
	s_delay_alu instid0(VALU_DEP_2) | instskip(NEXT) | instid1(VALU_DEP_1)
	v_med3_i32 v14, v14, 0, 13
	v_lshrrev_b32_e32 v35, v14, v16
	s_delay_alu instid0(VALU_DEP_1) | instskip(NEXT) | instid1(VALU_DEP_1)
	v_lshlrev_b32_e32 v14, v14, v35
	v_cmp_ne_u32_e64 s0, v14, v16
	v_cvt_f32_f16_e32 v14, v33
	s_delay_alu instid0(VALU_DEP_1) | instskip(NEXT) | instid1(VALU_DEP_1)
	v_cvt_f64_f32_e32 v[16:17], v14
	v_mul_f64_e32 v[27:28], s[12:13], v[16:17]
	s_delay_alu instid0(VALU_DEP_1) | instskip(SKIP_2) | instid1(VALU_DEP_3)
	v_and_or_b32 v14, 0x1ff, v28, v27
	v_lshrrev_b32_e32 v16, 8, v28
	v_bfe_u32 v33, v28, 20, 11
	v_cmp_ne_u32_e64 s1, 0, v14
	s_wait_alu 0xf1ff
	s_delay_alu instid0(VALU_DEP_1) | instskip(NEXT) | instid1(VALU_DEP_1)
	v_cndmask_b32_e64 v14, 0, 1, s1
	v_and_or_b32 v27, 0xffe, v16, v14
	v_sub_nc_u32_e32 v14, 0x3f1, v33
	s_delay_alu instid0(VALU_DEP_2) | instskip(NEXT) | instid1(VALU_DEP_2)
	v_or_b32_e32 v16, 0x1000, v27
	v_med3_i32 v14, v14, 0, 13
	s_delay_alu instid0(VALU_DEP_1) | instskip(NEXT) | instid1(VALU_DEP_1)
	v_lshrrev_b32_e32 v36, v14, v16
	v_lshlrev_b32_e32 v14, v14, v36
	s_delay_alu instid0(VALU_DEP_1) | instskip(SKIP_1) | instid1(VALU_DEP_1)
	v_cmp_ne_u32_e64 s1, v14, v16
	v_cvt_f64_f32_e32 v[16:17], v5
	v_mul_f64_e32 v[16:17], s[12:13], v[16:17]
	s_delay_alu instid0(VALU_DEP_1) | instskip(SKIP_1) | instid1(VALU_DEP_2)
	v_and_or_b32 v5, 0x1ff, v17, v16
	v_lshrrev_b32_e32 v14, 8, v17
	v_cmp_ne_u32_e64 s2, 0, v5
	s_wait_alu 0xf1ff
	s_delay_alu instid0(VALU_DEP_1) | instskip(NEXT) | instid1(VALU_DEP_1)
	v_cndmask_b32_e64 v5, 0, 1, s2
	v_and_or_b32 v5, 0xffe, v14, v5
	v_bfe_u32 v14, v17, 20, 11
	s_delay_alu instid0(VALU_DEP_2) | instskip(NEXT) | instid1(VALU_DEP_2)
	v_or_b32_e32 v19, 0x1000, v5
	v_sub_nc_u32_e32 v16, 0x3f1, v14
	v_add_nc_u32_e32 v14, 0xfffffc10, v14
	v_cmp_ne_u32_e64 s5, 0, v5
	s_delay_alu instid0(VALU_DEP_3) | instskip(NEXT) | instid1(VALU_DEP_1)
	v_med3_i32 v16, v16, 0, 13
	v_lshrrev_b32_e32 v30, v16, v19
	s_delay_alu instid0(VALU_DEP_1) | instskip(NEXT) | instid1(VALU_DEP_1)
	v_lshlrev_b32_e32 v16, v16, v30
	v_cmp_ne_u32_e64 s2, v16, v19
	v_lshl_or_b32 v19, v14, 12, v5
	s_wait_alu 0xfffd
	v_cndmask_b32_e64 v5, 0, 1, vcc_lo
	s_wait_alu 0xf1ff
	v_cndmask_b32_e64 v16, 0, 1, s2
	v_cmp_gt_i32_e64 s2, 1, v14
	s_delay_alu instid0(VALU_DEP_3) | instskip(NEXT) | instid1(VALU_DEP_3)
	v_or_b32_e32 v5, v32, v5
	v_or_b32_e32 v16, v30, v16
	s_wait_alu 0xf1ff
	s_delay_alu instid0(VALU_DEP_1) | instskip(NEXT) | instid1(VALU_DEP_1)
	v_cndmask_b32_e64 v16, v19, v16, s2
	v_and_b32_e32 v19, 7, v16
	v_lshrrev_b32_e32 v16, 2, v16
	s_delay_alu instid0(VALU_DEP_2) | instskip(SKIP_2) | instid1(VALU_DEP_1)
	v_cmp_lt_i32_e64 s2, 5, v19
	v_cmp_eq_u32_e64 s4, 3, v19
	v_add_nc_u32_e32 v19, 0xfffffc10, v29
	v_lshl_or_b32 v29, v19, 12, v25
	v_cmp_gt_i32_e32 vcc_lo, 1, v19
	s_wait_alu 0xfffd
	s_delay_alu instid0(VALU_DEP_2)
	v_cndmask_b32_e32 v5, v29, v5, vcc_lo
	s_or_b32 vcc_lo, s4, s2
	v_cndmask_b32_e64 v29, 0, 1, s5
	s_wait_alu 0xfffe
	v_add_co_ci_u32_e32 v16, vcc_lo, 0, v16, vcc_lo
	v_cmp_gt_i32_e32 vcc_lo, 31, v14
	v_cmp_ne_u32_e64 s4, 0, v25
	v_lshl_or_b32 v29, v29, 9, 0x7c00
	s_wait_alu 0xfffd
	v_cndmask_b32_e32 v16, 0x7c00, v16, vcc_lo
	v_cmp_eq_u32_e32 vcc_lo, 0x40f, v14
	s_wait_alu 0xfffd
	s_delay_alu instid0(VALU_DEP_2) | instskip(SKIP_3) | instid1(VALU_DEP_3)
	v_cndmask_b32_e32 v14, v16, v29, vcc_lo
	v_lshrrev_b32_e32 v16, 16, v17
	v_and_b32_e32 v17, 7, v5
	v_lshrrev_b32_e32 v5, 2, v5
	v_and_or_b32 v14, 0x8000, v16, v14
	s_delay_alu instid0(VALU_DEP_3)
	v_cmp_lt_i32_e32 vcc_lo, 5, v17
	v_cmp_eq_u32_e64 s2, 3, v17
	s_wait_alu 0xf1ff
	v_cndmask_b32_e64 v17, 0, 1, s4
	scratch_load_b32 v16, off, off offset:144 th:TH_LOAD_LU ; 4-byte Folded Reload
	v_and_b32_e32 v14, 0xffff, v14
	s_or_b32 vcc_lo, s2, vcc_lo
	v_lshl_or_b32 v17, v17, 9, 0x7c00
	s_wait_alu 0xfffe
	v_add_co_ci_u32_e32 v5, vcc_lo, 0, v5, vcc_lo
	v_cmp_gt_i32_e32 vcc_lo, 31, v19
	s_wait_alu 0xfffd
	s_delay_alu instid0(VALU_DEP_2) | instskip(SKIP_2) | instid1(VALU_DEP_2)
	v_cndmask_b32_e32 v5, 0x7c00, v5, vcc_lo
	v_cmp_eq_u32_e32 vcc_lo, 0x40f, v19
	s_wait_alu 0xfffd
	v_cndmask_b32_e32 v5, v5, v17, vcc_lo
	v_lshrrev_b32_e32 v17, 16, v26
	s_delay_alu instid0(VALU_DEP_1) | instskip(NEXT) | instid1(VALU_DEP_1)
	v_and_or_b32 v5, 0x8000, v17, v5
	v_lshl_or_b32 v5, v5, 16, v14
	scratch_load_b32 v14, off, off offset:148 th:TH_LOAD_LU ; 4-byte Folded Reload
	global_store_b32 v[9:10], v5, off
	v_lshrrev_b32_e32 v5, 16, v11
	v_add_co_u32 v9, vcc_lo, v9, s10
	s_wait_alu 0xfffd
	v_add_co_ci_u32_e32 v10, vcc_lo, s11, v10, vcc_lo
	s_wait_loadcnt 0x0
	v_mul_f16_e32 v19, v14, v5
	v_mul_f16_e32 v14, v14, v11
	s_delay_alu instid0(VALU_DEP_2) | instskip(NEXT) | instid1(VALU_DEP_2)
	v_fmac_f16_e32 v19, v16, v11
	v_fma_f16 v5, v16, v5, -v14
	ds_load_2addr_b32 v[16:17], v115 offset0:96 offset1:216
	v_cvt_f32_f16_e32 v5, v5
	s_wait_dscnt 0x0
	v_lshrrev_b32_e32 v11, 16, v16
	v_mul_f16_e32 v14, v44, v16
	s_delay_alu instid0(VALU_DEP_1) | instskip(SKIP_1) | instid1(VALU_DEP_2)
	v_fma_f16 v14, v43, v11, -v14
	v_mul_f16_e32 v11, v44, v11
	v_cvt_f32_f16_e32 v14, v14
	s_delay_alu instid0(VALU_DEP_2) | instskip(NEXT) | instid1(VALU_DEP_2)
	v_fmac_f16_e32 v11, v43, v16
	v_cvt_f64_f32_e32 v[25:26], v14
	s_delay_alu instid0(VALU_DEP_2) | instskip(NEXT) | instid1(VALU_DEP_2)
	v_cvt_f32_f16_e32 v11, v11
	v_mul_f64_e32 v[25:26], s[12:13], v[25:26]
	s_delay_alu instid0(VALU_DEP_1) | instskip(SKIP_2) | instid1(VALU_DEP_3)
	v_and_or_b32 v14, 0x1ff, v26, v25
	v_lshrrev_b32_e32 v25, 8, v26
	v_bfe_u32 v32, v26, 20, 11
	v_cmp_ne_u32_e32 vcc_lo, 0, v14
	s_wait_alu 0xfffd
	v_cndmask_b32_e64 v14, 0, 1, vcc_lo
	s_delay_alu instid0(VALU_DEP_1) | instskip(SKIP_1) | instid1(VALU_DEP_2)
	v_and_or_b32 v25, 0xffe, v25, v14
	v_sub_nc_u32_e32 v14, 0x3f1, v32
	v_or_b32_e32 v29, 0x1000, v25
	s_delay_alu instid0(VALU_DEP_2) | instskip(NEXT) | instid1(VALU_DEP_1)
	v_med3_i32 v14, v14, 0, 13
	v_lshrrev_b32_e32 v37, v14, v29
	s_delay_alu instid0(VALU_DEP_1) | instskip(NEXT) | instid1(VALU_DEP_1)
	v_lshlrev_b32_e32 v14, v14, v37
	v_cmp_ne_u32_e64 s2, v14, v29
	v_cvt_f64_f32_e32 v[29:30], v5
	s_delay_alu instid0(VALU_DEP_1) | instskip(NEXT) | instid1(VALU_DEP_1)
	v_mul_f64_e32 v[29:30], s[12:13], v[29:30]
	v_and_or_b32 v5, 0x1ff, v30, v29
	v_lshrrev_b32_e32 v14, 8, v30
	v_bfe_u32 v29, v30, 20, 11
	s_delay_alu instid0(VALU_DEP_3) | instskip(SKIP_2) | instid1(VALU_DEP_1)
	v_cmp_ne_u32_e32 vcc_lo, 0, v5
	s_wait_alu 0xfffd
	v_cndmask_b32_e64 v5, 0, 1, vcc_lo
	v_and_or_b32 v5, 0xffe, v14, v5
	v_sub_nc_u32_e32 v14, 0x3f1, v29
	s_delay_alu instid0(VALU_DEP_2) | instskip(NEXT) | instid1(VALU_DEP_2)
	v_or_b32_e32 v38, 0x1000, v5
	v_med3_i32 v14, v14, 0, 13
	s_delay_alu instid0(VALU_DEP_1) | instskip(NEXT) | instid1(VALU_DEP_1)
	v_lshrrev_b32_e32 v39, v14, v38
	v_lshlrev_b32_e32 v14, v14, v39
	s_delay_alu instid0(VALU_DEP_1) | instskip(SKIP_1) | instid1(VALU_DEP_1)
	v_cmp_ne_u32_e32 vcc_lo, v14, v38
	v_lshrrev_b32_e32 v14, 16, v15
	v_mul_f16_e32 v38, v40, v14
	v_mul_f16_e32 v40, v40, v15
	s_delay_alu instid0(VALU_DEP_2) | instskip(NEXT) | instid1(VALU_DEP_2)
	v_fmac_f16_e32 v38, v45, v15
	v_fma_f16 v40, v45, v14, -v40
	v_cvt_f64_f32_e32 v[14:15], v1
	s_delay_alu instid0(VALU_DEP_1) | instskip(NEXT) | instid1(VALU_DEP_1)
	v_mul_f64_e32 v[14:15], s[12:13], v[14:15]
	v_and_or_b32 v1, 0x1ff, v15, v14
	v_lshrrev_b32_e32 v3, 8, v15
	s_delay_alu instid0(VALU_DEP_2) | instskip(SKIP_1) | instid1(VALU_DEP_1)
	v_cmp_ne_u32_e64 s4, 0, v1
	s_wait_alu 0xf1ff
	v_cndmask_b32_e64 v1, 0, 1, s4
	s_delay_alu instid0(VALU_DEP_1) | instskip(SKIP_1) | instid1(VALU_DEP_2)
	v_and_or_b32 v1, 0xffe, v3, v1
	v_bfe_u32 v3, v15, 20, 11
	v_or_b32_e32 v41, 0x1000, v1
	s_delay_alu instid0(VALU_DEP_2) | instskip(SKIP_1) | instid1(VALU_DEP_2)
	v_sub_nc_u32_e32 v14, 0x3f1, v3
	v_add_nc_u32_e32 v3, 0xfffffc10, v3
	v_med3_i32 v14, v14, 0, 13
	s_delay_alu instid0(VALU_DEP_1) | instskip(NEXT) | instid1(VALU_DEP_1)
	v_lshrrev_b32_e32 v42, v14, v41
	v_lshlrev_b32_e32 v14, v14, v42
	s_delay_alu instid0(VALU_DEP_1) | instskip(SKIP_2) | instid1(VALU_DEP_2)
	v_cmp_ne_u32_e64 s4, v14, v41
	v_lshl_or_b32 v41, v3, 12, v1
	s_wait_alu 0xf1ff
	v_cndmask_b32_e64 v14, 0, 1, s4
	v_cmp_gt_i32_e64 s4, 1, v3
	s_delay_alu instid0(VALU_DEP_2) | instskip(SKIP_1) | instid1(VALU_DEP_1)
	v_or_b32_e32 v14, v42, v14
	s_wait_alu 0xf1ff
	v_cndmask_b32_e64 v14, v41, v14, s4
	s_delay_alu instid0(VALU_DEP_1) | instskip(SKIP_1) | instid1(VALU_DEP_2)
	v_and_b32_e32 v41, 7, v14
	v_lshrrev_b32_e32 v14, 2, v14
	v_cmp_lt_i32_e64 s4, 5, v41
	v_cmp_eq_u32_e64 s5, 3, v41
	v_cndmask_b32_e64 v41, 0, 1, s3
	v_cmp_ne_u32_e64 s3, 0, v1
	v_add_nc_u32_e32 v1, 0xfffffc10, v21
	s_delay_alu instid0(VALU_DEP_4) | instskip(NEXT) | instid1(VALU_DEP_3)
	s_or_b32 s4, s5, s4
	v_or_b32_e32 v31, v31, v41
	s_wait_alu 0xfffe
	v_add_co_ci_u32_e64 v14, s4, 0, v14, s4
	v_lshl_or_b32 v21, v1, 12, v7
	v_cmp_gt_i32_e64 s6, 1, v1
	v_cmp_gt_i32_e64 s4, 31, v3
	v_cmp_ne_u32_e64 s5, 0, v7
	s_wait_alu 0xf1ff
	s_delay_alu instid0(VALU_DEP_3)
	v_cndmask_b32_e64 v21, v21, v31, s6
	v_cndmask_b32_e64 v31, 0, 1, s3
	;; [unrolled: 1-line block ×3, first 2 shown]
	v_cmp_eq_u32_e64 s3, 0x40f, v3
	v_cmp_ne_u32_e64 s6, 0, v27
	v_lshrrev_b32_e32 v7, 2, v21
	v_lshl_or_b32 v31, v31, 9, 0x7c00
	s_wait_alu 0xf1ff
	s_delay_alu instid0(VALU_DEP_1) | instskip(SKIP_3) | instid1(VALU_DEP_3)
	v_cndmask_b32_e64 v3, v14, v31, s3
	v_lshrrev_b32_e32 v14, 16, v15
	v_and_b32_e32 v15, 7, v21
	v_add_nc_u32_e32 v21, 0xfffffc10, v33
	v_and_or_b32 v3, 0x8000, v14, v3
	s_delay_alu instid0(VALU_DEP_3) | instskip(SKIP_2) | instid1(VALU_DEP_4)
	v_cmp_lt_i32_e64 s3, 5, v15
	v_cmp_eq_u32_e64 s4, 3, v15
	v_cndmask_b32_e64 v14, 0, 1, s5
	v_and_b32_e32 v3, 0xffff, v3
	s_delay_alu instid0(VALU_DEP_3) | instskip(NEXT) | instid1(VALU_DEP_2)
	s_or_b32 s3, s4, s3
	v_lshl_or_b32 v14, v14, 9, 0x7c00
	s_wait_alu 0xfffe
	v_add_co_ci_u32_e64 v7, s3, 0, v7, s3
	v_cmp_gt_i32_e64 s3, 31, v1
	s_wait_alu 0xf1ff
	s_delay_alu instid0(VALU_DEP_1) | instskip(SKIP_2) | instid1(VALU_DEP_1)
	v_cndmask_b32_e64 v7, 0x7c00, v7, s3
	v_cmp_eq_u32_e64 s3, 0x40f, v1
	s_wait_alu 0xf1ff
	v_cndmask_b32_e64 v1, v7, v14, s3
	v_lshrrev_b32_e32 v7, 16, v22
	v_cndmask_b32_e64 v14, 0, 1, s0
	v_lshl_or_b32 v22, v21, 12, v27
	v_cmp_ne_u32_e64 s3, 0, v23
	s_delay_alu instid0(VALU_DEP_4)
	v_and_or_b32 v1, 0x8000, v7, v1
	v_add_nc_u32_e32 v7, 0xfffffc10, v34
	v_or_b32_e32 v14, v35, v14
	scratch_load_b32 v35, off, off offset:120 th:TH_LOAD_LU ; 4-byte Folded Reload
	v_lshl_or_b32 v1, v1, 16, v3
	v_lshl_or_b32 v15, v7, 12, v23
	v_cmp_gt_i32_e64 s0, 1, v7
	global_store_b32 v[9:10], v1, off
	v_mad_co_u64_u32 v[9:10], null, 0xffffcf40, s8, v[9:10]
	s_wait_alu 0xf1ff
	v_cndmask_b32_e64 v14, v15, v14, s0
	v_cndmask_b32_e64 v15, 0, 1, s1
	v_cmp_gt_i32_e64 s0, 1, v21
	s_delay_alu instid0(VALU_DEP_2)
	v_or_b32_e32 v15, v36, v15
	scratch_load_b32 v36, off, off offset:124 th:TH_LOAD_LU ; 4-byte Folded Reload
	s_wait_alu 0xf1ff
	v_cndmask_b32_e64 v15, v22, v15, s0
	v_and_b32_e32 v22, 7, v14
	v_lshrrev_b32_e32 v14, 2, v14
	s_delay_alu instid0(VALU_DEP_2) | instskip(SKIP_3) | instid1(VALU_DEP_3)
	v_cmp_lt_i32_e64 s0, 5, v22
	v_cmp_eq_u32_e64 s1, 3, v22
	v_and_b32_e32 v22, 7, v15
	v_lshrrev_b32_e32 v15, 2, v15
	s_or_b32 s0, s1, s0
	s_delay_alu instid0(VALU_DEP_2)
	v_cmp_lt_i32_e64 s4, 5, v22
	s_wait_alu 0xfffe
	v_add_co_ci_u32_e64 v14, s0, 0, v14, s0
	v_cmp_eq_u32_e64 s5, 3, v22
	v_cmp_gt_i32_e64 s0, 31, v7
	v_cndmask_b32_e64 v22, 0, 1, s3
	s_wait_alu 0xf1ff
	s_delay_alu instid0(VALU_DEP_2) | instskip(NEXT) | instid1(VALU_DEP_2)
	v_cndmask_b32_e64 v14, 0x7c00, v14, s0
	v_lshl_or_b32 v22, v22, 9, 0x7c00
	v_cmp_eq_u32_e64 s0, 0x40f, v7
	s_wait_alu 0xf1ff
	s_delay_alu instid0(VALU_DEP_1)
	v_cndmask_b32_e64 v7, v14, v22, s0
	s_or_b32 s0, s5, s4
	v_cndmask_b32_e64 v22, 0, 1, s6
	s_wait_alu 0xfffe
	v_add_co_ci_u32_e64 v15, s0, 0, v15, s0
	v_cmp_gt_i32_e64 s0, 31, v21
	v_lshrrev_b32_e32 v14, 16, v24
	v_lshl_or_b32 v22, v22, 9, 0x7c00
	s_wait_alu 0xf1ff
	s_delay_alu instid0(VALU_DEP_3) | instskip(SKIP_4) | instid1(VALU_DEP_3)
	v_cndmask_b32_e64 v15, 0x7c00, v15, s0
	v_cmp_eq_u32_e64 s0, 0x40f, v21
	v_lshrrev_b32_e32 v21, 16, v28
	v_and_or_b32 v3, 0x8000, v14, v7
	s_wait_alu 0xf1ff
	v_cndmask_b32_e64 v15, v15, v22, s0
	s_mul_i32 s0, s9, 0xffffcf40
	s_delay_alu instid0(VALU_DEP_2)
	v_and_b32_e32 v1, 0xffff, v3
	s_wait_alu 0xfffe
	s_sub_co_i32 s14, s0, s8
	v_and_or_b32 v7, 0x8000, v21, v15
	ds_load_2addr_b32 v[14:15], v114 offset0:48 offset1:168
	s_wait_alu 0xfffe
	v_add_nc_u32_e32 v10, s14, v10
	v_lshl_or_b32 v1, v7, 16, v1
	global_store_b32 v[9:10], v1, off
	v_add_co_u32 v9, s0, v9, s10
	s_wait_alu 0xf1ff
	v_add_co_ci_u32_e64 v10, s0, s11, v10, s0
	s_wait_dscnt 0x0
	v_lshrrev_b32_e32 v1, 16, v14
	s_wait_loadcnt 0x0
	v_mul_f16_e32 v3, v36, v14
	s_delay_alu instid0(VALU_DEP_1) | instskip(SKIP_1) | instid1(VALU_DEP_2)
	v_fma_f16 v3, v35, v1, -v3
	v_mul_f16_e32 v1, v36, v1
	v_cvt_f32_f16_e32 v3, v3
	s_delay_alu instid0(VALU_DEP_2) | instskip(NEXT) | instid1(VALU_DEP_2)
	v_fmac_f16_e32 v1, v35, v14
	v_cvt_f64_f32_e32 v[21:22], v3
	s_delay_alu instid0(VALU_DEP_2) | instskip(NEXT) | instid1(VALU_DEP_2)
	v_cvt_f32_f16_e32 v1, v1
	v_mul_f64_e32 v[21:22], s[12:13], v[21:22]
	s_delay_alu instid0(VALU_DEP_1) | instskip(SKIP_1) | instid1(VALU_DEP_2)
	v_and_or_b32 v3, 0x1ff, v22, v21
	v_lshrrev_b32_e32 v7, 8, v22
	v_cmp_ne_u32_e64 s0, 0, v3
	s_wait_alu 0xf1ff
	s_delay_alu instid0(VALU_DEP_1) | instskip(NEXT) | instid1(VALU_DEP_1)
	v_cndmask_b32_e64 v3, 0, 1, s0
	v_and_or_b32 v3, 0xffe, v7, v3
	v_bfe_u32 v7, v22, 20, 11
	s_delay_alu instid0(VALU_DEP_2) | instskip(NEXT) | instid1(VALU_DEP_2)
	v_or_b32_e32 v23, 0x1000, v3
	v_sub_nc_u32_e32 v21, 0x3f1, v7
	s_delay_alu instid0(VALU_DEP_1) | instskip(NEXT) | instid1(VALU_DEP_1)
	v_med3_i32 v21, v21, 0, 13
	v_lshrrev_b32_e32 v31, v21, v23
	s_delay_alu instid0(VALU_DEP_1) | instskip(NEXT) | instid1(VALU_DEP_1)
	v_lshlrev_b32_e32 v21, v21, v31
	v_cmp_ne_u32_e64 s0, v21, v23
	v_cvt_f64_f32_e32 v[23:24], v11
	s_delay_alu instid0(VALU_DEP_1) | instskip(NEXT) | instid1(VALU_DEP_1)
	v_mul_f64_e32 v[23:24], s[12:13], v[23:24]
	v_and_or_b32 v11, 0x1ff, v24, v23
	v_lshrrev_b32_e32 v16, 8, v24
	s_delay_alu instid0(VALU_DEP_2) | instskip(SKIP_1) | instid1(VALU_DEP_1)
	v_cmp_ne_u32_e64 s1, 0, v11
	s_wait_alu 0xf1ff
	v_cndmask_b32_e64 v11, 0, 1, s1
	s_delay_alu instid0(VALU_DEP_1) | instskip(SKIP_1) | instid1(VALU_DEP_2)
	v_and_or_b32 v11, 0xffe, v16, v11
	v_bfe_u32 v16, v24, 20, 11
	v_or_b32_e32 v23, 0x1000, v11
	s_delay_alu instid0(VALU_DEP_2) | instskip(SKIP_2) | instid1(VALU_DEP_3)
	v_sub_nc_u32_e32 v21, 0x3f1, v16
	v_add_nc_u32_e32 v16, 0xfffffc10, v16
	v_cmp_ne_u32_e64 s3, 0, v11
	v_med3_i32 v21, v21, 0, 13
	s_delay_alu instid0(VALU_DEP_1) | instskip(NEXT) | instid1(VALU_DEP_1)
	v_lshrrev_b32_e32 v27, v21, v23
	v_lshlrev_b32_e32 v21, v21, v27
	s_delay_alu instid0(VALU_DEP_1) | instskip(SKIP_2) | instid1(VALU_DEP_2)
	v_cmp_ne_u32_e64 s1, v21, v23
	v_lshl_or_b32 v23, v16, 12, v11
	s_wait_alu 0xf1ff
	v_cndmask_b32_e64 v21, 0, 1, s1
	v_cmp_gt_i32_e64 s1, 1, v16
	s_delay_alu instid0(VALU_DEP_2) | instskip(SKIP_2) | instid1(VALU_DEP_2)
	v_or_b32_e32 v21, v27, v21
	v_add_nc_u32_e32 v27, 0xfffffc10, v32
	s_wait_alu 0xf1ff
	v_cndmask_b32_e64 v21, v23, v21, s1
	v_cndmask_b32_e64 v23, 0, 1, s2
	s_delay_alu instid0(VALU_DEP_3) | instskip(SKIP_1) | instid1(VALU_DEP_3)
	v_lshl_or_b32 v28, v27, 12, v25
	v_cmp_gt_i32_e64 s1, 1, v27
	v_or_b32_e32 v23, v37, v23
	s_wait_alu 0xf1ff
	s_delay_alu instid0(VALU_DEP_1) | instskip(SKIP_1) | instid1(VALU_DEP_2)
	v_cndmask_b32_e64 v23, v28, v23, s1
	v_and_b32_e32 v28, 7, v21
	v_and_b32_e32 v11, 7, v23
	s_delay_alu instid0(VALU_DEP_2) | instskip(SKIP_1) | instid1(VALU_DEP_3)
	v_cmp_lt_i32_e64 s1, 5, v28
	v_cmp_eq_u32_e64 s2, 3, v28
	v_cmp_lt_i32_e64 s4, 5, v11
	v_cmp_eq_u32_e64 s5, 3, v11
	v_lshrrev_b32_e32 v11, 2, v21
	s_delay_alu instid0(VALU_DEP_4) | instskip(SKIP_1) | instid1(VALU_DEP_3)
	s_or_b32 s1, s2, s1
	v_cndmask_b32_e64 v21, 0, 1, s3
	s_or_b32 s2, s5, s4
	s_wait_alu 0xfffe
	v_add_co_ci_u32_e64 v11, s1, 0, v11, s1
	v_cmp_gt_i32_e64 s1, 31, v16
	v_lshl_or_b32 v21, v21, 9, 0x7c00
	s_wait_alu 0xf1ff
	s_delay_alu instid0(VALU_DEP_2) | instskip(SKIP_3) | instid1(VALU_DEP_2)
	v_cndmask_b32_e64 v11, 0x7c00, v11, s1
	v_cmp_eq_u32_e64 s1, 0x40f, v16
	v_lshrrev_b32_e32 v16, 16, v24
	s_wait_alu 0xf1ff
	v_cndmask_b32_e64 v11, v11, v21, s1
	v_lshrrev_b32_e32 v21, 2, v23
	v_cmp_ne_u32_e64 s1, 0, v25
	s_delay_alu instid0(VALU_DEP_3) | instskip(NEXT) | instid1(VALU_DEP_3)
	v_and_or_b32 v11, 0x8000, v16, v11
	v_add_co_ci_u32_e64 v21, s2, 0, v21, s2
	v_cmp_gt_i32_e64 s2, 31, v27
	s_wait_alu 0xf1ff
	v_cndmask_b32_e64 v23, 0, 1, s1
	v_cmp_eq_u32_e64 s1, 0x40f, v27
	v_and_b32_e32 v11, 0xffff, v11
	scratch_load_b32 v27, off, off offset:112 th:TH_LOAD_LU ; 4-byte Folded Reload
	v_cndmask_b32_e64 v21, 0x7c00, v21, s2
	v_lshl_or_b32 v23, v23, 9, 0x7c00
	s_wait_alu 0xf1ff
	s_delay_alu instid0(VALU_DEP_1) | instskip(SKIP_1) | instid1(VALU_DEP_1)
	v_cndmask_b32_e64 v21, v21, v23, s1
	v_lshrrev_b32_e32 v23, 16, v26
	v_and_or_b32 v16, 0x8000, v23, v21
	s_delay_alu instid0(VALU_DEP_1)
	v_lshl_or_b32 v11, v16, 16, v11
	global_store_b32 v[9:10], v11, off
	v_cvt_f32_f16_e32 v11, v19
	v_add_co_u32 v9, s1, v9, s10
	s_wait_alu 0xf1ff
	v_add_co_ci_u32_e64 v10, s1, s11, v10, s1
	s_delay_alu instid0(VALU_DEP_3) | instskip(NEXT) | instid1(VALU_DEP_1)
	v_cvt_f64_f32_e32 v[23:24], v11
	v_mul_f64_e32 v[23:24], s[12:13], v[23:24]
	s_delay_alu instid0(VALU_DEP_1) | instskip(SKIP_1) | instid1(VALU_DEP_2)
	v_and_or_b32 v11, 0x1ff, v24, v23
	v_lshrrev_b32_e32 v16, 8, v24
	v_cmp_ne_u32_e64 s1, 0, v11
	s_wait_alu 0xf1ff
	s_delay_alu instid0(VALU_DEP_1) | instskip(NEXT) | instid1(VALU_DEP_1)
	v_cndmask_b32_e64 v11, 0, 1, s1
	v_and_or_b32 v11, 0xffe, v16, v11
	v_bfe_u32 v16, v24, 20, 11
	s_delay_alu instid0(VALU_DEP_2) | instskip(NEXT) | instid1(VALU_DEP_2)
	v_or_b32_e32 v21, 0x1000, v11
	v_sub_nc_u32_e32 v19, 0x3f1, v16
	v_add_nc_u32_e32 v16, 0xfffffc10, v16
	v_cmp_ne_u32_e64 s2, 0, v11
	s_delay_alu instid0(VALU_DEP_3) | instskip(NEXT) | instid1(VALU_DEP_1)
	v_med3_i32 v19, v19, 0, 13
	v_lshrrev_b32_e32 v23, v19, v21
	s_delay_alu instid0(VALU_DEP_1) | instskip(NEXT) | instid1(VALU_DEP_1)
	v_lshlrev_b32_e32 v19, v19, v23
	v_cmp_ne_u32_e64 s1, v19, v21
	v_lshl_or_b32 v21, v16, 12, v11
	s_wait_alu 0xf1ff
	s_delay_alu instid0(VALU_DEP_2) | instskip(SKIP_1) | instid1(VALU_DEP_2)
	v_cndmask_b32_e64 v19, 0, 1, s1
	v_cmp_gt_i32_e64 s1, 1, v16
	v_or_b32_e32 v19, v23, v19
	v_add_nc_u32_e32 v23, 0xfffffc10, v29
	s_wait_alu 0xf1ff
	s_delay_alu instid0(VALU_DEP_2) | instskip(SKIP_4) | instid1(VALU_DEP_3)
	v_cndmask_b32_e64 v19, v21, v19, s1
	s_wait_alu 0xfffd
	v_cndmask_b32_e64 v21, 0, 1, vcc_lo
	v_lshl_or_b32 v25, v23, 12, v5
	v_cmp_gt_i32_e32 vcc_lo, 1, v23
	v_or_b32_e32 v21, v39, v21
	s_wait_alu 0xfffd
	s_delay_alu instid0(VALU_DEP_1) | instskip(SKIP_1) | instid1(VALU_DEP_2)
	v_cndmask_b32_e32 v21, v25, v21, vcc_lo
	v_and_b32_e32 v25, 7, v19
	v_and_b32_e32 v11, 7, v21
	s_delay_alu instid0(VALU_DEP_2) | instskip(SKIP_1) | instid1(VALU_DEP_3)
	v_cmp_lt_i32_e32 vcc_lo, 5, v25
	v_cmp_eq_u32_e64 s1, 3, v25
	v_cmp_lt_i32_e64 s3, 5, v11
	v_cmp_eq_u32_e64 s4, 3, v11
	v_lshrrev_b32_e32 v11, 2, v19
	s_delay_alu instid0(VALU_DEP_4) | instskip(SKIP_1) | instid1(VALU_DEP_3)
	s_or_b32 vcc_lo, s1, vcc_lo
	v_cndmask_b32_e64 v19, 0, 1, s2
	s_or_b32 s1, s4, s3
	s_wait_alu 0xfffe
	v_add_co_ci_u32_e32 v11, vcc_lo, 0, v11, vcc_lo
	v_cmp_gt_i32_e32 vcc_lo, 31, v16
	v_lshl_or_b32 v19, v19, 9, 0x7c00
	s_wait_alu 0xfffd
	s_delay_alu instid0(VALU_DEP_3) | instskip(SKIP_3) | instid1(VALU_DEP_3)
	v_cndmask_b32_e32 v11, 0x7c00, v11, vcc_lo
	v_cmp_eq_u32_e32 vcc_lo, 0x40f, v16
	v_lshrrev_b32_e32 v16, 16, v24
	s_wait_alu 0xfffd
	v_cndmask_b32_e32 v11, v11, v19, vcc_lo
	v_cmp_ne_u32_e32 vcc_lo, 0, v5
	v_lshrrev_b32_e32 v5, 2, v21
	s_delay_alu instid0(VALU_DEP_3) | instskip(SKIP_2) | instid1(VALU_DEP_3)
	v_and_or_b32 v11, 0x8000, v16, v11
	s_wait_alu 0xfffd
	v_cndmask_b32_e64 v19, 0, 1, vcc_lo
	v_add_co_ci_u32_e64 v5, s1, 0, v5, s1
	v_cmp_gt_i32_e64 s1, 31, v23
	v_cmp_eq_u32_e32 vcc_lo, 0x40f, v23
	s_delay_alu instid0(VALU_DEP_4) | instskip(SKIP_4) | instid1(VALU_DEP_1)
	v_lshl_or_b32 v19, v19, 9, 0x7c00
	v_and_b32_e32 v11, 0xffff, v11
	s_wait_alu 0xf1ff
	v_cndmask_b32_e64 v5, 0x7c00, v5, s1
	s_wait_alu 0xfffd
	v_cndmask_b32_e32 v5, v5, v19, vcc_lo
	v_lshrrev_b32_e32 v19, 16, v30
	v_add_co_u32 v23, vcc_lo, v9, s10
	s_wait_alu 0xfffd
	v_add_co_ci_u32_e32 v24, vcc_lo, s11, v10, vcc_lo
	s_delay_alu instid0(VALU_DEP_3) | instskip(NEXT) | instid1(VALU_DEP_1)
	v_and_or_b32 v5, 0x8000, v19, v5
	v_lshl_or_b32 v5, v5, 16, v11
	global_store_b32 v[9:10], v5, off
	v_cvt_f32_f16_e32 v5, v40
	s_delay_alu instid0(VALU_DEP_1) | instskip(NEXT) | instid1(VALU_DEP_1)
	v_cvt_f64_f32_e32 v[9:10], v5
	v_mul_f64_e32 v[25:26], s[12:13], v[9:10]
	s_delay_alu instid0(VALU_DEP_1)
	v_and_or_b32 v5, 0x1ff, v26, v25
	scratch_load_b32 v25, off, off offset:116 th:TH_LOAD_LU ; 4-byte Folded Reload
	v_lshrrev_b32_e32 v9, 8, v26
	v_bfe_u32 v16, v26, 20, 11
	v_cmp_ne_u32_e32 vcc_lo, 0, v5
	s_wait_alu 0xfffd
	v_cndmask_b32_e64 v5, 0, 1, vcc_lo
	s_delay_alu instid0(VALU_DEP_1) | instskip(SKIP_1) | instid1(VALU_DEP_2)
	v_and_or_b32 v5, 0xffe, v9, v5
	v_sub_nc_u32_e32 v9, 0x3f1, v16
	v_or_b32_e32 v10, 0x1000, v5
	s_delay_alu instid0(VALU_DEP_2) | instskip(NEXT) | instid1(VALU_DEP_1)
	v_med3_i32 v9, v9, 0, 13
	v_lshrrev_b32_e32 v19, v9, v10
	s_delay_alu instid0(VALU_DEP_1) | instskip(NEXT) | instid1(VALU_DEP_1)
	v_lshlrev_b32_e32 v9, v9, v19
	v_cmp_ne_u32_e32 vcc_lo, v9, v10
	ds_load_2addr_b32 v[10:11], v125 offset0:128 offset1:248
	s_wait_dscnt 0x0
	v_lshrrev_b32_e32 v9, 16, v10
	s_wait_loadcnt 0x0
	v_mul_f16_e32 v21, v25, v10
	s_delay_alu instid0(VALU_DEP_2) | instskip(NEXT) | instid1(VALU_DEP_2)
	v_mul_f16_e32 v25, v25, v9
	v_fma_f16 v21, v27, v9, -v21
	s_delay_alu instid0(VALU_DEP_2) | instskip(NEXT) | instid1(VALU_DEP_2)
	v_fmac_f16_e32 v25, v27, v10
	v_cvt_f32_f16_e32 v21, v21
	s_delay_alu instid0(VALU_DEP_2) | instskip(NEXT) | instid1(VALU_DEP_1)
	v_cvt_f32_f16_e32 v9, v25
	v_cvt_f64_f32_e32 v[9:10], v9
	s_delay_alu instid0(VALU_DEP_1) | instskip(NEXT) | instid1(VALU_DEP_1)
	v_mul_f64_e32 v[9:10], s[12:13], v[9:10]
	v_and_or_b32 v9, 0x1ff, v10, v9
	v_lshrrev_b32_e32 v25, 8, v10
	s_delay_alu instid0(VALU_DEP_2) | instskip(SKIP_1) | instid1(VALU_DEP_1)
	v_cmp_ne_u32_e64 s1, 0, v9
	s_wait_alu 0xf1ff
	v_cndmask_b32_e64 v9, 0, 1, s1
	s_delay_alu instid0(VALU_DEP_1) | instskip(SKIP_1) | instid1(VALU_DEP_2)
	v_and_or_b32 v9, 0xffe, v25, v9
	v_bfe_u32 v25, v10, 20, 11
	v_or_b32_e32 v28, 0x1000, v9
	s_delay_alu instid0(VALU_DEP_2) | instskip(NEXT) | instid1(VALU_DEP_1)
	v_sub_nc_u32_e32 v27, 0x3f1, v25
	v_med3_i32 v27, v27, 0, 13
	s_delay_alu instid0(VALU_DEP_1) | instskip(NEXT) | instid1(VALU_DEP_1)
	v_lshrrev_b32_e32 v32, v27, v28
	v_lshlrev_b32_e32 v27, v27, v32
	s_delay_alu instid0(VALU_DEP_1) | instskip(SKIP_1) | instid1(VALU_DEP_1)
	v_cmp_ne_u32_e64 s1, v27, v28
	v_cvt_f64_f32_e32 v[27:28], v21
	v_mul_f64_e32 v[27:28], s[12:13], v[27:28]
	s_delay_alu instid0(VALU_DEP_1) | instskip(SKIP_2) | instid1(VALU_DEP_3)
	v_and_or_b32 v21, 0x1ff, v28, v27
	v_lshrrev_b32_e32 v27, 8, v28
	v_bfe_u32 v33, v28, 20, 11
	v_cmp_ne_u32_e64 s2, 0, v21
	s_wait_alu 0xf1ff
	s_delay_alu instid0(VALU_DEP_1) | instskip(NEXT) | instid1(VALU_DEP_1)
	v_cndmask_b32_e64 v21, 0, 1, s2
	v_and_or_b32 v27, 0xffe, v27, v21
	v_sub_nc_u32_e32 v21, 0x3f1, v33
	s_delay_alu instid0(VALU_DEP_2) | instskip(NEXT) | instid1(VALU_DEP_2)
	v_or_b32_e32 v29, 0x1000, v27
	v_med3_i32 v21, v21, 0, 13
	s_delay_alu instid0(VALU_DEP_1) | instskip(NEXT) | instid1(VALU_DEP_1)
	v_lshrrev_b32_e32 v34, v21, v29
	v_lshlrev_b32_e32 v21, v21, v34
	s_delay_alu instid0(VALU_DEP_1) | instskip(SKIP_1) | instid1(VALU_DEP_1)
	v_cmp_ne_u32_e64 s2, v21, v29
	v_cvt_f64_f32_e32 v[29:30], v1
	v_mul_f64_e32 v[29:30], s[12:13], v[29:30]
	s_delay_alu instid0(VALU_DEP_1) | instskip(SKIP_1) | instid1(VALU_DEP_2)
	v_and_or_b32 v1, 0x1ff, v30, v29
	v_lshrrev_b32_e32 v14, 8, v30
	v_cmp_ne_u32_e64 s3, 0, v1
	s_wait_alu 0xf1ff
	s_delay_alu instid0(VALU_DEP_1) | instskip(NEXT) | instid1(VALU_DEP_1)
	v_cndmask_b32_e64 v1, 0, 1, s3
	v_and_or_b32 v1, 0xffe, v14, v1
	v_bfe_u32 v14, v30, 20, 11
	s_delay_alu instid0(VALU_DEP_2) | instskip(NEXT) | instid1(VALU_DEP_2)
	v_or_b32_e32 v29, 0x1000, v1
	v_sub_nc_u32_e32 v21, 0x3f1, v14
	v_add_nc_u32_e32 v14, 0xfffffc10, v14
	s_delay_alu instid0(VALU_DEP_2) | instskip(NEXT) | instid1(VALU_DEP_1)
	v_med3_i32 v21, v21, 0, 13
	v_lshrrev_b32_e32 v35, v21, v29
	s_delay_alu instid0(VALU_DEP_1) | instskip(NEXT) | instid1(VALU_DEP_1)
	v_lshlrev_b32_e32 v21, v21, v35
	v_cmp_ne_u32_e64 s3, v21, v29
	v_lshl_or_b32 v29, v14, 12, v1
	s_wait_alu 0xf1ff
	s_delay_alu instid0(VALU_DEP_2) | instskip(SKIP_1) | instid1(VALU_DEP_2)
	v_cndmask_b32_e64 v21, 0, 1, s3
	v_cmp_gt_i32_e64 s3, 1, v14
	v_or_b32_e32 v21, v35, v21
	s_wait_alu 0xf1ff
	s_delay_alu instid0(VALU_DEP_1) | instskip(NEXT) | instid1(VALU_DEP_1)
	v_cndmask_b32_e64 v21, v29, v21, s3
	v_and_b32_e32 v29, 7, v21
	v_lshrrev_b32_e32 v21, 2, v21
	s_delay_alu instid0(VALU_DEP_2) | instskip(SKIP_4) | instid1(VALU_DEP_4)
	v_cmp_lt_i32_e64 s3, 5, v29
	v_cmp_eq_u32_e64 s4, 3, v29
	v_cndmask_b32_e64 v29, 0, 1, s0
	v_cmp_ne_u32_e64 s0, 0, v1
	v_add_nc_u32_e32 v1, 0xfffffc10, v7
	s_or_b32 s3, s4, s3
	s_delay_alu instid0(VALU_DEP_3)
	v_or_b32_e32 v29, v31, v29
	s_wait_alu 0xfffe
	v_add_co_ci_u32_e64 v21, s3, 0, v21, s3
	v_lshl_or_b32 v7, v1, 12, v3
	v_cmp_gt_i32_e64 s5, 1, v1
	v_cmp_gt_i32_e64 s3, 31, v14
	v_cmp_ne_u32_e64 s4, 0, v3
	v_lshrrev_b32_e32 v3, 16, v30
	s_wait_alu 0xf1ff
	v_cndmask_b32_e64 v7, v7, v29, s5
	v_cndmask_b32_e64 v29, 0, 1, s0
	;; [unrolled: 1-line block ×3, first 2 shown]
	v_cmp_eq_u32_e64 s0, 0x40f, v14
	s_delay_alu instid0(VALU_DEP_3) | instskip(SKIP_1) | instid1(VALU_DEP_1)
	v_lshl_or_b32 v29, v29, 9, 0x7c00
	s_wait_alu 0xf1ff
	v_cndmask_b32_e64 v14, v21, v29, s0
	v_and_b32_e32 v21, 7, v7
	v_lshrrev_b32_e32 v7, 2, v7
	s_delay_alu instid0(VALU_DEP_3) | instskip(NEXT) | instid1(VALU_DEP_3)
	v_and_or_b32 v3, 0x8000, v3, v14
	v_cmp_lt_i32_e64 s0, 5, v21
	v_cmp_eq_u32_e64 s3, 3, v21
	v_cndmask_b32_e64 v21, 0, 1, s4
	s_delay_alu instid0(VALU_DEP_4) | instskip(NEXT) | instid1(VALU_DEP_3)
	v_and_b32_e32 v3, 0xffff, v3
	s_or_b32 s0, s3, s0
	s_delay_alu instid0(VALU_DEP_2) | instskip(SKIP_4) | instid1(VALU_DEP_1)
	v_lshl_or_b32 v21, v21, 9, 0x7c00
	s_wait_alu 0xfffe
	v_add_co_ci_u32_e64 v7, s0, 0, v7, s0
	v_cmp_gt_i32_e64 s0, 31, v1
	s_wait_alu 0xf1ff
	v_cndmask_b32_e64 v7, 0x7c00, v7, s0
	v_cmp_eq_u32_e64 s0, 0x40f, v1
	s_wait_alu 0xf1ff
	s_delay_alu instid0(VALU_DEP_1) | instskip(SKIP_4) | instid1(VALU_DEP_3)
	v_cndmask_b32_e64 v1, v7, v21, s0
	v_lshrrev_b32_e32 v7, 16, v22
	v_add_co_u32 v21, s0, v23, s10
	s_wait_alu 0xf1ff
	v_add_co_ci_u32_e64 v22, s0, s11, v24, s0
	v_and_or_b32 v1, 0x8000, v7, v1
	s_delay_alu instid0(VALU_DEP_1) | instskip(SKIP_2) | instid1(VALU_DEP_1)
	v_lshl_or_b32 v1, v1, 16, v3
	global_store_b32 v[23:24], v1, off
	v_cvt_f32_f16_e32 v1, v38
	v_cvt_f64_f32_e32 v[23:24], v1
	s_delay_alu instid0(VALU_DEP_1) | instskip(NEXT) | instid1(VALU_DEP_1)
	v_mul_f64_e32 v[23:24], s[12:13], v[23:24]
	v_and_or_b32 v1, 0x1ff, v24, v23
	v_lshrrev_b32_e32 v3, 8, v24
	s_delay_alu instid0(VALU_DEP_2) | instskip(SKIP_1) | instid1(VALU_DEP_1)
	v_cmp_ne_u32_e64 s0, 0, v1
	s_wait_alu 0xf1ff
	v_cndmask_b32_e64 v1, 0, 1, s0
	s_delay_alu instid0(VALU_DEP_1) | instskip(SKIP_1) | instid1(VALU_DEP_2)
	v_and_or_b32 v1, 0xffe, v3, v1
	v_bfe_u32 v3, v24, 20, 11
	v_or_b32_e32 v14, 0x1000, v1
	s_delay_alu instid0(VALU_DEP_2) | instskip(SKIP_1) | instid1(VALU_DEP_2)
	v_sub_nc_u32_e32 v7, 0x3f1, v3
	v_add_nc_u32_e32 v3, 0xfffffc10, v3
	v_med3_i32 v7, v7, 0, 13
	s_delay_alu instid0(VALU_DEP_1) | instskip(NEXT) | instid1(VALU_DEP_1)
	v_lshrrev_b32_e32 v23, v7, v14
	v_lshlrev_b32_e32 v7, v7, v23
	s_delay_alu instid0(VALU_DEP_1) | instskip(SKIP_2) | instid1(VALU_DEP_2)
	v_cmp_ne_u32_e64 s0, v7, v14
	v_lshl_or_b32 v14, v3, 12, v1
	s_wait_alu 0xf1ff
	v_cndmask_b32_e64 v7, 0, 1, s0
	v_cmp_gt_i32_e64 s0, 1, v3
	s_delay_alu instid0(VALU_DEP_2) | instskip(SKIP_1) | instid1(VALU_DEP_1)
	v_or_b32_e32 v7, v23, v7
	s_wait_alu 0xf1ff
	v_cndmask_b32_e64 v7, v14, v7, s0
	s_delay_alu instid0(VALU_DEP_1) | instskip(SKIP_1) | instid1(VALU_DEP_2)
	v_and_b32_e32 v14, 7, v7
	v_lshrrev_b32_e32 v7, 2, v7
	v_cmp_lt_i32_e64 s0, 5, v14
	v_cmp_eq_u32_e64 s3, 3, v14
	s_wait_alu 0xfffd
	v_cndmask_b32_e64 v14, 0, 1, vcc_lo
	v_cmp_ne_u32_e32 vcc_lo, 0, v1
	v_add_nc_u32_e32 v1, 0xfffffc10, v16
	s_or_b32 s0, s3, s0
	s_delay_alu instid0(VALU_DEP_3)
	v_or_b32_e32 v14, v19, v14
	s_wait_alu 0xfffe
	v_add_co_ci_u32_e64 v7, s0, 0, v7, s0
	v_lshl_or_b32 v16, v1, 12, v5
	v_cmp_gt_i32_e64 s4, 1, v1
	v_cmp_gt_i32_e64 s0, 31, v3
	v_cmp_ne_u32_e64 s3, 0, v5
	v_cndmask_b32_e64 v5, 0, 1, s1
	v_cmp_ne_u32_e64 s1, 0, v9
	s_wait_alu 0xf1ff
	v_cndmask_b32_e64 v14, v16, v14, s4
	s_wait_alu 0xfffd
	v_cndmask_b32_e64 v16, 0, 1, vcc_lo
	v_cndmask_b32_e64 v7, 0x7c00, v7, s0
	v_cmp_eq_u32_e32 vcc_lo, 0x40f, v3
	v_or_b32_e32 v5, v32, v5
	s_delay_alu instid0(VALU_DEP_4) | instskip(SKIP_1) | instid1(VALU_DEP_1)
	v_lshl_or_b32 v16, v16, 9, 0x7c00
	s_wait_alu 0xfffd
	v_cndmask_b32_e32 v3, v7, v16, vcc_lo
	v_and_b32_e32 v7, 7, v14
	v_lshrrev_b32_e32 v14, 2, v14
	v_cndmask_b32_e64 v16, 0, 1, s3
	s_delay_alu instid0(VALU_DEP_3) | instskip(SKIP_1) | instid1(VALU_DEP_3)
	v_cmp_lt_i32_e32 vcc_lo, 5, v7
	v_cmp_eq_u32_e64 s0, 3, v7
	v_lshl_or_b32 v16, v16, 9, 0x7c00
	v_lshrrev_b32_e32 v7, 16, v24
	s_delay_alu instid0(VALU_DEP_3)
	s_or_b32 vcc_lo, s0, vcc_lo
	s_wait_alu 0xfffe
	v_add_co_ci_u32_e32 v14, vcc_lo, 0, v14, vcc_lo
	v_cmp_gt_i32_e32 vcc_lo, 31, v1
	v_and_or_b32 v3, 0x8000, v7, v3
	v_cndmask_b32_e64 v7, 0, 1, s2
	s_wait_alu 0xfffd
	v_cndmask_b32_e32 v14, 0x7c00, v14, vcc_lo
	v_cmp_eq_u32_e32 vcc_lo, 0x40f, v1
	s_delay_alu instid0(VALU_DEP_3)
	v_or_b32_e32 v7, v34, v7
	v_and_b32_e32 v3, 0xffff, v3
	s_wait_alu 0xfffd
	v_cndmask_b32_e32 v1, v14, v16, vcc_lo
	v_lshrrev_b32_e32 v14, 16, v26
	v_add_nc_u32_e32 v16, 0xfffffc10, v25
	s_delay_alu instid0(VALU_DEP_2) | instskip(NEXT) | instid1(VALU_DEP_2)
	v_and_or_b32 v1, 0x8000, v14, v1
	v_lshl_or_b32 v19, v16, 12, v9
	v_cmp_gt_i32_e32 vcc_lo, 1, v16
	v_add_nc_u32_e32 v14, 0xfffffc10, v33
	s_delay_alu instid0(VALU_DEP_4) | instskip(SKIP_2) | instid1(VALU_DEP_3)
	v_lshl_or_b32 v1, v1, 16, v3
	s_wait_alu 0xfffd
	v_cndmask_b32_e32 v5, v19, v5, vcc_lo
	v_lshl_or_b32 v19, v14, 12, v27
	v_cmp_gt_i32_e32 vcc_lo, 1, v14
	s_wait_alu 0xfffd
	s_delay_alu instid0(VALU_DEP_2) | instskip(SKIP_2) | instid1(VALU_DEP_3)
	v_cndmask_b32_e32 v7, v19, v7, vcc_lo
	v_and_b32_e32 v19, 7, v5
	v_lshrrev_b32_e32 v5, 2, v5
	v_and_b32_e32 v9, 7, v7
	s_delay_alu instid0(VALU_DEP_3) | instskip(SKIP_2) | instid1(VALU_DEP_4)
	v_cmp_lt_i32_e32 vcc_lo, 5, v19
	v_cmp_eq_u32_e64 s0, 3, v19
	v_lshrrev_b32_e32 v7, 2, v7
	v_cmp_lt_i32_e64 s2, 5, v9
	v_cmp_eq_u32_e64 s3, 3, v9
	s_delay_alu instid0(VALU_DEP_4)
	s_or_b32 vcc_lo, s0, vcc_lo
	v_cndmask_b32_e64 v9, 0, 1, s1
	s_wait_alu 0xfffe
	v_add_co_ci_u32_e32 v5, vcc_lo, 0, v5, vcc_lo
	v_cmp_gt_i32_e32 vcc_lo, 31, v16
	s_or_b32 s0, s3, s2
	v_lshl_or_b32 v9, v9, 9, 0x7c00
	s_wait_alu 0xfffe
	v_add_co_ci_u32_e64 v7, s0, 0, v7, s0
	s_wait_alu 0xfffd
	v_cndmask_b32_e32 v5, 0x7c00, v5, vcc_lo
	v_cmp_eq_u32_e32 vcc_lo, 0x40f, v16
	v_cmp_gt_i32_e64 s0, 31, v14
	s_wait_alu 0xfffd
	s_delay_alu instid0(VALU_DEP_3)
	v_cndmask_b32_e32 v5, v5, v9, vcc_lo
	v_cmp_ne_u32_e32 vcc_lo, 0, v27
	v_lshrrev_b32_e32 v9, 16, v10
	s_wait_alu 0xf1ff
	v_cndmask_b32_e64 v7, 0x7c00, v7, s0
	s_wait_alu 0xfffd
	v_cndmask_b32_e64 v10, 0, 1, vcc_lo
	v_cmp_eq_u32_e32 vcc_lo, 0x40f, v14
	v_and_or_b32 v5, 0x8000, v9, v5
	s_delay_alu instid0(VALU_DEP_3) | instskip(NEXT) | instid1(VALU_DEP_2)
	v_lshl_or_b32 v10, v10, 9, 0x7c00
	v_and_b32_e32 v5, 0xffff, v5
	s_wait_alu 0xfffd
	s_delay_alu instid0(VALU_DEP_2) | instskip(SKIP_1) | instid1(VALU_DEP_1)
	v_cndmask_b32_e32 v7, v7, v10, vcc_lo
	v_lshrrev_b32_e32 v10, 16, v28
	v_and_or_b32 v3, 0x8000, v10, v7
	s_delay_alu instid0(VALU_DEP_1)
	v_lshl_or_b32 v3, v3, 16, v5
	global_store_b32 v[21:22], v1, off
	global_store_b32 v[12:13], v3, off
	s_clause 0x3
	scratch_load_b32 v5, off, off offset:100 th:TH_LOAD_LU
	scratch_load_b32 v7, off, off offset:96 th:TH_LOAD_LU
	;; [unrolled: 1-line block ×4, first 2 shown]
	v_lshrrev_b32_e32 v1, 16, v18
	v_mad_co_u64_u32 v[22:23], null, 0xb40, s8, v[21:22]
	s_clause 0x1
	scratch_load_b32 v40, off, off offset:76 th:TH_LOAD_LU
	scratch_load_b32 v39, off, off offset:72 th:TH_LOAD_LU
	s_wait_loadcnt 0x5
	v_mul_f16_e32 v3, v5, v1
	v_mul_f16_e32 v5, v5, v18
	s_wait_loadcnt 0x4
	s_delay_alu instid0(VALU_DEP_2) | instskip(NEXT) | instid1(VALU_DEP_2)
	v_fmac_f16_e32 v3, v7, v18
	v_fma_f16 v1, v7, v1, -v5
	scratch_load_b32 v7, off, off offset:108 th:TH_LOAD_LU ; 4-byte Folded Reload
	v_cvt_f32_f16_e32 v1, v1
	s_delay_alu instid0(VALU_DEP_1) | instskip(NEXT) | instid1(VALU_DEP_1)
	v_cvt_f64_f32_e32 v[9:10], v1
	v_mul_f64_e32 v[28:29], s[12:13], v[9:10]
	scratch_load_b32 v9, off, off offset:104 th:TH_LOAD_LU ; 4-byte Folded Reload
	v_and_or_b32 v1, 0x1ff, v29, v28
	v_lshrrev_b32_e32 v5, 8, v29
	v_bfe_u32 v30, v29, 20, 11
	s_delay_alu instid0(VALU_DEP_3) | instskip(SKIP_2) | instid1(VALU_DEP_1)
	v_cmp_ne_u32_e32 vcc_lo, 0, v1
	s_wait_alu 0xfffd
	v_cndmask_b32_e64 v1, 0, 1, vcc_lo
	v_and_or_b32 v16, 0xffe, v5, v1
	v_sub_nc_u32_e32 v1, 0x3f1, v30
	s_delay_alu instid0(VALU_DEP_2) | instskip(NEXT) | instid1(VALU_DEP_2)
	v_or_b32_e32 v5, 0x1000, v16
	v_med3_i32 v1, v1, 0, 13
	s_delay_alu instid0(VALU_DEP_1) | instskip(NEXT) | instid1(VALU_DEP_1)
	v_lshrrev_b32_e32 v31, v1, v5
	v_lshlrev_b32_e32 v1, v1, v31
	s_delay_alu instid0(VALU_DEP_1) | instskip(SKIP_2) | instid1(VALU_DEP_1)
	v_cmp_ne_u32_e32 vcc_lo, v1, v5
	v_lshrrev_b32_e32 v1, 16, v20
	s_wait_loadcnt 0x1
	v_mul_f16_e32 v5, v7, v1
	v_mul_f16_e32 v7, v7, v20
	s_wait_loadcnt 0x0
	s_delay_alu instid0(VALU_DEP_1) | instskip(SKIP_2) | instid1(VALU_DEP_2)
	v_fma_f16 v7, v9, v1, -v7
	v_mov_b32_e32 v1, v23
	v_fmac_f16_e32 v5, v9, v20
	v_mad_co_u64_u32 v[9:10], null, 0xb40, s9, v[1:2]
	s_delay_alu instid0(VALU_DEP_2) | instskip(NEXT) | instid1(VALU_DEP_2)
	v_cvt_f32_f16_e32 v5, v5
	v_mov_b32_e32 v23, v9
	ds_load_2addr_b32 v[9:10], v107 offset0:80 offset1:200
	s_wait_dscnt 0x0
	v_lshrrev_b32_e32 v26, 16, v9
	v_mul_f16_e32 v1, v37, v9
	s_delay_alu instid0(VALU_DEP_1) | instskip(SKIP_1) | instid1(VALU_DEP_2)
	v_fma_f16 v1, v36, v26, -v1
	v_mul_f16_e32 v26, v37, v26
	v_cvt_f32_f16_e32 v1, v1
	s_delay_alu instid0(VALU_DEP_2) | instskip(NEXT) | instid1(VALU_DEP_2)
	v_fmac_f16_e32 v26, v36, v9
	v_cvt_f64_f32_e32 v[12:13], v1
	s_delay_alu instid0(VALU_DEP_2) | instskip(NEXT) | instid1(VALU_DEP_2)
	v_cvt_f32_f16_e32 v9, v26
	v_mul_f64_e32 v[13:14], s[12:13], v[12:13]
	s_delay_alu instid0(VALU_DEP_1) | instskip(SKIP_3) | instid1(VALU_DEP_4)
	v_and_or_b32 v1, 0x1ff, v14, v13
	v_lshrrev_b32_e32 v12, 8, v14
	v_bfe_u32 v24, v14, 20, 11
	v_lshrrev_b32_e32 v14, 16, v14
	v_cmp_ne_u32_e64 s0, 0, v1
	s_wait_alu 0xf1ff
	s_delay_alu instid0(VALU_DEP_1) | instskip(NEXT) | instid1(VALU_DEP_1)
	v_cndmask_b32_e64 v1, 0, 1, s0
	v_and_or_b32 v21, 0xffe, v12, v1
	v_sub_nc_u32_e32 v1, 0x3f1, v24
	s_delay_alu instid0(VALU_DEP_2) | instskip(NEXT) | instid1(VALU_DEP_2)
	v_or_b32_e32 v12, 0x1000, v21
	v_med3_i32 v1, v1, 0, 13
	s_delay_alu instid0(VALU_DEP_1) | instskip(NEXT) | instid1(VALU_DEP_1)
	v_lshrrev_b32_e32 v25, v1, v12
	v_lshlrev_b32_e32 v1, v1, v25
	s_delay_alu instid0(VALU_DEP_1) | instskip(SKIP_1) | instid1(VALU_DEP_1)
	v_cmp_ne_u32_e64 s0, v1, v12
	v_cvt_f32_f16_e32 v1, v7
	v_cvt_f64_f32_e32 v[12:13], v1
	s_delay_alu instid0(VALU_DEP_1) | instskip(SKIP_4) | instid1(VALU_DEP_3)
	v_mul_f64_e32 v[18:19], s[12:13], v[12:13]
	scratch_load_b32 v12, off, off offset:80 th:TH_LOAD_LU ; 4-byte Folded Reload
	v_and_or_b32 v1, 0x1ff, v19, v18
	v_lshrrev_b32_e32 v7, 8, v19
	v_bfe_u32 v27, v19, 20, 11
	v_cmp_ne_u32_e64 s1, 0, v1
	s_wait_alu 0xf1ff
	s_delay_alu instid0(VALU_DEP_1) | instskip(NEXT) | instid1(VALU_DEP_1)
	v_cndmask_b32_e64 v1, 0, 1, s1
	v_and_or_b32 v18, 0xffe, v7, v1
	v_sub_nc_u32_e32 v1, 0x3f1, v27
	s_delay_alu instid0(VALU_DEP_2) | instskip(NEXT) | instid1(VALU_DEP_2)
	v_or_b32_e32 v7, 0x1000, v18
	v_med3_i32 v1, v1, 0, 13
	s_delay_alu instid0(VALU_DEP_1) | instskip(NEXT) | instid1(VALU_DEP_1)
	v_lshrrev_b32_e32 v28, v1, v7
	v_lshlrev_b32_e32 v1, v1, v28
	s_delay_alu instid0(VALU_DEP_1) | instskip(SKIP_3) | instid1(VALU_DEP_1)
	v_cmp_ne_u32_e64 s2, v1, v7
	scratch_load_b32 v7, off, off offset:84 th:TH_LOAD_LU ; 4-byte Folded Reload
	v_lshrrev_b32_e32 v1, 16, v8
	s_wait_loadcnt 0x0
	v_mul_f16_e32 v32, v7, v1
	v_mul_f16_e32 v7, v7, v8
	s_delay_alu instid0(VALU_DEP_2) | instskip(NEXT) | instid1(VALU_DEP_2)
	v_fmac_f16_e32 v32, v12, v8
	v_fma_f16 v33, v12, v1, -v7
	v_cvt_f32_f16_e32 v1, v3
	s_delay_alu instid0(VALU_DEP_1) | instskip(NEXT) | instid1(VALU_DEP_1)
	v_cvt_f64_f32_e32 v[7:8], v1
	v_mul_f64_e32 v[7:8], s[12:13], v[7:8]
	s_delay_alu instid0(VALU_DEP_1) | instskip(SKIP_1) | instid1(VALU_DEP_2)
	v_and_or_b32 v1, 0x1ff, v8, v7
	v_lshrrev_b32_e32 v3, 8, v8
	v_cmp_ne_u32_e64 s1, 0, v1
	s_wait_alu 0xf1ff
	s_delay_alu instid0(VALU_DEP_1) | instskip(NEXT) | instid1(VALU_DEP_1)
	v_cndmask_b32_e64 v1, 0, 1, s1
	v_and_or_b32 v1, 0xffe, v3, v1
	v_bfe_u32 v3, v8, 20, 11
	s_delay_alu instid0(VALU_DEP_2) | instskip(NEXT) | instid1(VALU_DEP_2)
	v_or_b32_e32 v12, 0x1000, v1
	v_sub_nc_u32_e32 v7, 0x3f1, v3
	v_add_nc_u32_e32 v3, 0xfffffc10, v3
	s_delay_alu instid0(VALU_DEP_2) | instskip(NEXT) | instid1(VALU_DEP_1)
	v_med3_i32 v7, v7, 0, 13
	v_lshrrev_b32_e32 v13, v7, v12
	s_delay_alu instid0(VALU_DEP_1) | instskip(NEXT) | instid1(VALU_DEP_1)
	v_lshlrev_b32_e32 v7, v7, v13
	v_cmp_ne_u32_e64 s1, v7, v12
	v_lshl_or_b32 v12, v3, 12, v1
	s_wait_alu 0xf1ff
	s_delay_alu instid0(VALU_DEP_2) | instskip(SKIP_1) | instid1(VALU_DEP_2)
	v_cndmask_b32_e64 v7, 0, 1, s1
	v_cmp_gt_i32_e64 s1, 1, v3
	v_or_b32_e32 v7, v13, v7
	s_wait_alu 0xf1ff
	s_delay_alu instid0(VALU_DEP_1) | instskip(NEXT) | instid1(VALU_DEP_1)
	v_cndmask_b32_e64 v7, v12, v7, s1
	v_and_b32_e32 v12, 7, v7
	v_lshrrev_b32_e32 v7, 2, v7
	s_delay_alu instid0(VALU_DEP_2)
	v_cmp_lt_i32_e64 s1, 5, v12
	v_cmp_eq_u32_e64 s3, 3, v12
	s_wait_alu 0xfffd
	v_cndmask_b32_e64 v12, 0, 1, vcc_lo
	v_cmp_ne_u32_e32 vcc_lo, 0, v1
	v_add_nc_u32_e32 v1, 0xfffffc10, v30
	s_or_b32 s1, s3, s1
	s_delay_alu instid0(VALU_DEP_3)
	v_or_b32_e32 v12, v31, v12
	s_wait_alu 0xfffe
	v_add_co_ci_u32_e64 v7, s1, 0, v7, s1
	v_lshl_or_b32 v13, v1, 12, v16
	v_cmp_gt_i32_e64 s4, 1, v1
	v_cmp_gt_i32_e64 s1, 31, v3
	v_cmp_ne_u32_e64 s3, 0, v16
	s_wait_alu 0xf1ff
	s_delay_alu instid0(VALU_DEP_3) | instskip(SKIP_4) | instid1(VALU_DEP_3)
	v_cndmask_b32_e64 v12, v13, v12, s4
	s_wait_alu 0xfffd
	v_cndmask_b32_e64 v13, 0, 1, vcc_lo
	v_cndmask_b32_e64 v7, 0x7c00, v7, s1
	v_cmp_eq_u32_e32 vcc_lo, 0x40f, v3
	v_lshl_or_b32 v13, v13, 9, 0x7c00
	s_wait_alu 0xfffd
	s_delay_alu instid0(VALU_DEP_1) | instskip(SKIP_1) | instid1(VALU_DEP_1)
	v_cndmask_b32_e32 v3, v7, v13, vcc_lo
	v_and_b32_e32 v7, 7, v12
	v_cmp_lt_i32_e32 vcc_lo, 5, v7
	v_cmp_eq_u32_e64 s1, 3, v7
	v_lshrrev_b32_e32 v7, 16, v8
	v_lshrrev_b32_e32 v8, 2, v12
	v_cndmask_b32_e64 v12, 0, 1, s3
	s_delay_alu instid0(VALU_DEP_4) | instskip(NEXT) | instid1(VALU_DEP_3)
	s_or_b32 vcc_lo, s1, vcc_lo
	v_and_or_b32 v3, 0x8000, v7, v3
	s_wait_alu 0xfffe
	v_add_co_ci_u32_e32 v8, vcc_lo, 0, v8, vcc_lo
	v_cmp_gt_i32_e32 vcc_lo, 31, v1
	v_lshl_or_b32 v12, v12, 9, 0x7c00
	v_and_b32_e32 v3, 0xffff, v3
	s_wait_alu 0xfffd
	v_cndmask_b32_e32 v8, 0x7c00, v8, vcc_lo
	v_cmp_eq_u32_e32 vcc_lo, 0x40f, v1
	s_wait_alu 0xfffd
	s_delay_alu instid0(VALU_DEP_2) | instskip(SKIP_4) | instid1(VALU_DEP_3)
	v_cndmask_b32_e32 v1, v8, v12, vcc_lo
	v_lshrrev_b32_e32 v8, 16, v29
	v_add_co_u32 v29, vcc_lo, v22, s10
	s_wait_alu 0xfffd
	v_add_co_ci_u32_e32 v30, vcc_lo, s11, v23, vcc_lo
	v_and_or_b32 v1, 0x8000, v8, v1
	ds_load_2addr_b32 v[7:8], v128 offset0:32 offset1:152
	v_lshl_or_b32 v1, v1, 16, v3
	global_store_b32 v[22:23], v1, off
	scratch_load_b32 v23, off, off offset:64 th:TH_LOAD_LU ; 4-byte Folded Reload
	s_wait_dscnt 0x0
	v_lshrrev_b32_e32 v20, 16, v7
	v_mul_f16_e32 v1, v40, v7
	s_delay_alu instid0(VALU_DEP_1) | instskip(SKIP_1) | instid1(VALU_DEP_2)
	v_fma_f16 v1, v39, v20, -v1
	v_mul_f16_e32 v20, v40, v20
	v_cvt_f32_f16_e32 v1, v1
	s_delay_alu instid0(VALU_DEP_2) | instskip(NEXT) | instid1(VALU_DEP_2)
	v_fmac_f16_e32 v20, v39, v7
	v_cvt_f64_f32_e32 v[12:13], v1
	s_delay_alu instid0(VALU_DEP_2) | instskip(NEXT) | instid1(VALU_DEP_2)
	v_cvt_f32_f16_e32 v7, v20
	v_mul_f64_e32 v[12:13], s[12:13], v[12:13]
	s_delay_alu instid0(VALU_DEP_1) | instskip(SKIP_1) | instid1(VALU_DEP_2)
	v_and_or_b32 v1, 0x1ff, v13, v12
	v_lshrrev_b32_e32 v3, 8, v13
	v_cmp_ne_u32_e32 vcc_lo, 0, v1
	s_wait_alu 0xfffd
	v_cndmask_b32_e64 v1, 0, 1, vcc_lo
	s_delay_alu instid0(VALU_DEP_1) | instskip(SKIP_1) | instid1(VALU_DEP_2)
	v_and_or_b32 v1, 0xffe, v3, v1
	v_bfe_u32 v3, v13, 20, 11
	v_or_b32_e32 v22, 0x1000, v1
	s_delay_alu instid0(VALU_DEP_2) | instskip(SKIP_1) | instid1(VALU_DEP_2)
	v_sub_nc_u32_e32 v12, 0x3f1, v3
	v_add_nc_u32_e32 v3, 0xfffffc10, v3
	v_med3_i32 v16, v12, 0, 13
	s_delay_alu instid0(VALU_DEP_2) | instskip(NEXT) | instid1(VALU_DEP_2)
	v_cmp_gt_i32_e64 s7, 1, v3
	v_lshrrev_b32_e32 v12, v16, v22
	s_delay_alu instid0(VALU_DEP_1) | instskip(NEXT) | instid1(VALU_DEP_1)
	v_lshlrev_b32_e32 v16, v16, v12
	v_cmp_ne_u32_e32 vcc_lo, v16, v22
	scratch_load_b32 v22, off, off offset:68 th:TH_LOAD_LU ; 4-byte Folded Reload
	v_lshrrev_b32_e32 v16, 16, v17
	s_wait_loadcnt 0x0
	s_delay_alu instid0(VALU_DEP_1) | instskip(SKIP_1) | instid1(VALU_DEP_2)
	v_mul_f16_e32 v34, v22, v16
	v_mul_f16_e32 v22, v22, v17
	v_fmac_f16_e32 v34, v23, v17
	s_delay_alu instid0(VALU_DEP_2) | instskip(SKIP_1) | instid1(VALU_DEP_1)
	v_fma_f16 v35, v23, v16, -v22
	v_cvt_f32_f16_e32 v16, v32
	v_cvt_f64_f32_e32 v[16:17], v16
	s_delay_alu instid0(VALU_DEP_1) | instskip(NEXT) | instid1(VALU_DEP_1)
	v_mul_f64_e32 v[16:17], s[12:13], v[16:17]
	v_and_or_b32 v16, 0x1ff, v17, v16
	v_lshrrev_b32_e32 v22, 8, v17
	s_delay_alu instid0(VALU_DEP_2) | instskip(SKIP_1) | instid1(VALU_DEP_1)
	v_cmp_ne_u32_e64 s1, 0, v16
	s_wait_alu 0xf1ff
	v_cndmask_b32_e64 v16, 0, 1, s1
	s_delay_alu instid0(VALU_DEP_1) | instskip(SKIP_1) | instid1(VALU_DEP_2)
	v_and_or_b32 v16, 0xffe, v22, v16
	v_bfe_u32 v22, v17, 20, 11
	v_or_b32_e32 v32, 0x1000, v16
	s_delay_alu instid0(VALU_DEP_2) | instskip(NEXT) | instid1(VALU_DEP_1)
	v_sub_nc_u32_e32 v23, 0x3f1, v22
	v_med3_i32 v31, v23, 0, 13
	s_delay_alu instid0(VALU_DEP_1) | instskip(NEXT) | instid1(VALU_DEP_1)
	v_lshrrev_b32_e32 v23, v31, v32
	v_lshlrev_b32_e32 v31, v31, v23
	s_delay_alu instid0(VALU_DEP_1) | instskip(SKIP_1) | instid1(VALU_DEP_1)
	v_cmp_ne_u32_e64 s1, v31, v32
	v_cvt_f64_f32_e32 v[31:32], v9
	v_mul_f64_e32 v[31:32], s[12:13], v[31:32]
	s_delay_alu instid0(VALU_DEP_1) | instskip(SKIP_1) | instid1(VALU_DEP_2)
	v_and_or_b32 v9, 0x1ff, v32, v31
	v_lshrrev_b32_e32 v26, 8, v32
	v_cmp_ne_u32_e64 s3, 0, v9
	s_wait_alu 0xf1ff
	s_delay_alu instid0(VALU_DEP_1) | instskip(NEXT) | instid1(VALU_DEP_1)
	v_cndmask_b32_e64 v9, 0, 1, s3
	v_and_or_b32 v9, 0xffe, v26, v9
	v_bfe_u32 v26, v32, 20, 11
	s_delay_alu instid0(VALU_DEP_2) | instskip(NEXT) | instid1(VALU_DEP_2)
	v_or_b32_e32 v36, 0x1000, v9
	v_sub_nc_u32_e32 v31, 0x3f1, v26
	v_add_nc_u32_e32 v26, 0xfffffc10, v26
	s_delay_alu instid0(VALU_DEP_2) | instskip(NEXT) | instid1(VALU_DEP_1)
	v_med3_i32 v31, v31, 0, 13
	v_lshrrev_b32_e32 v37, v31, v36
	s_delay_alu instid0(VALU_DEP_1) | instskip(NEXT) | instid1(VALU_DEP_1)
	v_lshlrev_b32_e32 v31, v31, v37
	v_cmp_ne_u32_e64 s3, v31, v36
	v_lshl_or_b32 v36, v26, 12, v9
	s_wait_alu 0xf1ff
	s_delay_alu instid0(VALU_DEP_2) | instskip(SKIP_1) | instid1(VALU_DEP_2)
	v_cndmask_b32_e64 v31, 0, 1, s3
	v_cmp_gt_i32_e64 s3, 1, v26
	v_or_b32_e32 v31, v37, v31
	s_wait_alu 0xf1ff
	s_delay_alu instid0(VALU_DEP_1) | instskip(NEXT) | instid1(VALU_DEP_1)
	v_cndmask_b32_e64 v31, v36, v31, s3
	v_and_b32_e32 v36, 7, v31
	s_delay_alu instid0(VALU_DEP_1) | instskip(SKIP_4) | instid1(VALU_DEP_4)
	v_cmp_lt_i32_e64 s3, 5, v36
	v_cmp_eq_u32_e64 s4, 3, v36
	v_cndmask_b32_e64 v36, 0, 1, s0
	v_cmp_ne_u32_e64 s0, 0, v9
	v_add_nc_u32_e32 v9, 0xfffffc10, v24
	s_or_b32 s3, s4, s3
	s_delay_alu instid0(VALU_DEP_3) | instskip(SKIP_1) | instid1(VALU_DEP_3)
	v_or_b32_e32 v25, v25, v36
	v_cmp_ne_u32_e64 s4, 0, v21
	v_lshl_or_b32 v24, v9, 12, v21
	v_cmp_gt_i32_e64 s5, 1, v9
	s_wait_alu 0xf1ff
	s_delay_alu instid0(VALU_DEP_1) | instskip(SKIP_3) | instid1(VALU_DEP_4)
	v_cndmask_b32_e64 v24, v24, v25, s5
	v_lshrrev_b32_e32 v25, 2, v31
	v_cndmask_b32_e64 v31, 0, 1, s0
	v_cmp_eq_u32_e64 s0, 0x40f, v26
	v_lshrrev_b32_e32 v21, 2, v24
	s_wait_alu 0xfffe
	v_add_co_ci_u32_e64 v25, s3, 0, v25, s3
	v_cmp_gt_i32_e64 s3, 31, v26
	v_lshl_or_b32 v31, v31, 9, 0x7c00
	v_lshrrev_b32_e32 v26, 16, v32
	s_wait_alu 0xf1ff
	s_delay_alu instid0(VALU_DEP_3) | instskip(NEXT) | instid1(VALU_DEP_1)
	v_cndmask_b32_e64 v25, 0x7c00, v25, s3
	v_cndmask_b32_e64 v25, v25, v31, s0
	v_and_b32_e32 v31, 7, v24
	v_cndmask_b32_e64 v24, 0, 1, s4
	s_delay_alu instid0(VALU_DEP_2) | instskip(SKIP_1) | instid1(VALU_DEP_3)
	v_cmp_lt_i32_e64 s0, 5, v31
	v_cmp_eq_u32_e64 s3, 3, v31
	v_lshl_or_b32 v24, v24, 9, 0x7c00
	s_delay_alu instid0(VALU_DEP_2) | instskip(SKIP_4) | instid1(VALU_DEP_1)
	s_or_b32 s0, s3, s0
	s_wait_alu 0xfffe
	v_add_co_ci_u32_e64 v21, s0, 0, v21, s0
	v_cmp_gt_i32_e64 s0, 31, v9
	s_wait_alu 0xf1ff
	v_cndmask_b32_e64 v21, 0x7c00, v21, s0
	v_cmp_eq_u32_e64 s0, 0x40f, v9
	s_wait_alu 0xf1ff
	s_delay_alu instid0(VALU_DEP_1)
	v_cndmask_b32_e64 v9, v21, v24, s0
	v_and_or_b32 v21, 0x8000, v26, v25
	v_add_co_u32 v24, s0, v29, s10
	s_wait_alu 0xf1ff
	v_add_co_ci_u32_e64 v25, s0, s11, v30, s0
	v_and_or_b32 v9, 0x8000, v14, v9
	v_and_b32_e32 v14, 0xffff, v21
	s_delay_alu instid0(VALU_DEP_1) | instskip(SKIP_2) | instid1(VALU_DEP_1)
	v_lshl_or_b32 v9, v9, 16, v14
	global_store_b32 v[29:30], v9, off
	v_cvt_f64_f32_e32 v[29:30], v5
	v_mul_f64_e32 v[29:30], s[12:13], v[29:30]
	s_delay_alu instid0(VALU_DEP_1) | instskip(SKIP_1) | instid1(VALU_DEP_2)
	v_and_or_b32 v5, 0x1ff, v30, v29
	v_lshrrev_b32_e32 v9, 8, v30
	v_cmp_ne_u32_e64 s0, 0, v5
	s_wait_alu 0xf1ff
	s_delay_alu instid0(VALU_DEP_1) | instskip(NEXT) | instid1(VALU_DEP_1)
	v_cndmask_b32_e64 v5, 0, 1, s0
	v_and_or_b32 v5, 0xffe, v9, v5
	v_bfe_u32 v9, v30, 20, 11
	s_delay_alu instid0(VALU_DEP_2) | instskip(NEXT) | instid1(VALU_DEP_2)
	v_or_b32_e32 v21, 0x1000, v5
	v_sub_nc_u32_e32 v14, 0x3f1, v9
	v_add_nc_u32_e32 v9, 0xfffffc10, v9
	v_cmp_ne_u32_e64 s3, 0, v5
	s_delay_alu instid0(VALU_DEP_3) | instskip(NEXT) | instid1(VALU_DEP_1)
	v_med3_i32 v14, v14, 0, 13
	v_lshrrev_b32_e32 v26, v14, v21
	s_delay_alu instid0(VALU_DEP_1) | instskip(NEXT) | instid1(VALU_DEP_1)
	v_lshlrev_b32_e32 v14, v14, v26
	v_cmp_ne_u32_e64 s0, v14, v21
	v_lshl_or_b32 v21, v9, 12, v5
	s_wait_alu 0xf1ff
	s_delay_alu instid0(VALU_DEP_2) | instskip(SKIP_1) | instid1(VALU_DEP_2)
	v_cndmask_b32_e64 v14, 0, 1, s0
	v_cmp_gt_i32_e64 s0, 1, v9
	v_or_b32_e32 v14, v26, v14
	v_add_nc_u32_e32 v26, 0xfffffc10, v27
	s_wait_alu 0xf1ff
	s_delay_alu instid0(VALU_DEP_2) | instskip(SKIP_1) | instid1(VALU_DEP_3)
	v_cndmask_b32_e64 v14, v21, v14, s0
	v_cndmask_b32_e64 v21, 0, 1, s2
	v_lshl_or_b32 v27, v26, 12, v18
	v_cmp_gt_i32_e64 s0, 1, v26
	s_delay_alu instid0(VALU_DEP_3) | instskip(SKIP_1) | instid1(VALU_DEP_1)
	v_or_b32_e32 v21, v28, v21
	s_wait_alu 0xf1ff
	v_cndmask_b32_e64 v21, v27, v21, s0
	v_and_b32_e32 v27, 7, v14
	s_delay_alu instid0(VALU_DEP_2) | instskip(NEXT) | instid1(VALU_DEP_2)
	v_and_b32_e32 v5, 7, v21
	v_cmp_lt_i32_e64 s0, 5, v27
	v_cmp_eq_u32_e64 s2, 3, v27
	s_delay_alu instid0(VALU_DEP_3) | instskip(SKIP_2) | instid1(VALU_DEP_4)
	v_cmp_lt_i32_e64 s4, 5, v5
	v_cmp_eq_u32_e64 s5, 3, v5
	v_lshrrev_b32_e32 v5, 2, v14
	s_or_b32 s0, s2, s0
	v_cndmask_b32_e64 v14, 0, 1, s3
	s_delay_alu instid0(VALU_DEP_3)
	s_or_b32 s2, s5, s4
	s_wait_alu 0xfffe
	v_add_co_ci_u32_e64 v5, s0, 0, v5, s0
	v_cmp_gt_i32_e64 s0, 31, v9
	v_lshl_or_b32 v14, v14, 9, 0x7c00
	s_wait_alu 0xf1ff
	s_delay_alu instid0(VALU_DEP_2) | instskip(SKIP_3) | instid1(VALU_DEP_2)
	v_cndmask_b32_e64 v5, 0x7c00, v5, s0
	v_cmp_eq_u32_e64 s0, 0x40f, v9
	v_lshrrev_b32_e32 v9, 16, v30
	s_wait_alu 0xf1ff
	v_cndmask_b32_e64 v5, v5, v14, s0
	v_lshrrev_b32_e32 v14, 2, v21
	v_cmp_ne_u32_e64 s0, 0, v18
	s_delay_alu instid0(VALU_DEP_3) | instskip(NEXT) | instid1(VALU_DEP_3)
	v_and_or_b32 v5, 0x8000, v9, v5
	v_add_co_ci_u32_e64 v14, s2, 0, v14, s2
	v_cmp_gt_i32_e64 s2, 31, v26
	s_wait_alu 0xf1ff
	v_cndmask_b32_e64 v18, 0, 1, s0
	v_cmp_eq_u32_e64 s0, 0x40f, v26
	v_and_b32_e32 v5, 0xffff, v5
	v_cndmask_b32_e64 v14, 0x7c00, v14, s2
	s_delay_alu instid0(VALU_DEP_4) | instskip(SKIP_1) | instid1(VALU_DEP_1)
	v_lshl_or_b32 v18, v18, 9, 0x7c00
	s_wait_alu 0xf1ff
	v_cndmask_b32_e64 v14, v14, v18, s0
	v_lshrrev_b32_e32 v18, 16, v19
	v_add_co_u32 v28, s0, v24, s10
	s_wait_alu 0xf1ff
	v_add_co_ci_u32_e64 v29, s0, s11, v25, s0
	s_delay_alu instid0(VALU_DEP_3) | instskip(SKIP_4) | instid1(VALU_DEP_1)
	v_and_or_b32 v9, 0x8000, v18, v14
	scratch_load_b32 v14, off, off offset:60 th:TH_LOAD_LU ; 4-byte Folded Reload
	v_lshl_or_b32 v5, v9, 16, v5
	global_store_b32 v[24:25], v5, off
	v_cvt_f32_f16_e32 v5, v33
	v_cvt_f64_f32_e32 v[18:19], v5
	s_delay_alu instid0(VALU_DEP_1) | instskip(SKIP_4) | instid1(VALU_DEP_3)
	v_mul_f64_e32 v[30:31], s[12:13], v[18:19]
	scratch_load_b32 v18, off, off offset:56 th:TH_LOAD_LU ; 4-byte Folded Reload
	v_and_or_b32 v5, 0x1ff, v31, v30
	v_lshrrev_b32_e32 v9, 8, v31
	v_bfe_u32 v36, v31, 20, 11
	v_cmp_ne_u32_e64 s0, 0, v5
	s_wait_alu 0xf1ff
	s_delay_alu instid0(VALU_DEP_1) | instskip(NEXT) | instid1(VALU_DEP_1)
	v_cndmask_b32_e64 v5, 0, 1, s0
	v_and_or_b32 v30, 0xffe, v9, v5
	v_sub_nc_u32_e32 v5, 0x3f1, v36
	s_delay_alu instid0(VALU_DEP_2) | instskip(NEXT) | instid1(VALU_DEP_2)
	v_or_b32_e32 v9, 0x1000, v30
	v_med3_i32 v5, v5, 0, 13
	s_delay_alu instid0(VALU_DEP_1) | instskip(NEXT) | instid1(VALU_DEP_1)
	v_lshrrev_b32_e32 v37, v5, v9
	v_lshlrev_b32_e32 v5, v5, v37
	s_delay_alu instid0(VALU_DEP_1) | instskip(SKIP_2) | instid1(VALU_DEP_1)
	v_cmp_ne_u32_e64 s4, v5, v9
	v_lshrrev_b32_e32 v5, 16, v6
	s_wait_loadcnt 0x1
	v_mul_f16_e32 v9, v14, v5
	v_mul_f16_e32 v14, v14, v6
	s_wait_loadcnt 0x0
	s_delay_alu instid0(VALU_DEP_1) | instskip(SKIP_2) | instid1(VALU_DEP_2)
	v_fma_f16 v38, v18, v5, -v14
	v_cvt_f32_f16_e32 v5, v34
	v_fmac_f16_e32 v9, v18, v6
	v_cvt_f64_f32_e32 v[5:6], v5
	s_delay_alu instid0(VALU_DEP_1) | instskip(NEXT) | instid1(VALU_DEP_1)
	v_mul_f64_e32 v[18:19], s[12:13], v[5:6]
	v_and_or_b32 v5, 0x1ff, v19, v18
	v_lshrrev_b32_e32 v6, 8, v19
	v_bfe_u32 v25, v19, 20, 11
	scratch_load_b32 v18, off, off offset:48 th:TH_LOAD_LU ; 4-byte Folded Reload
	v_cmp_ne_u32_e64 s0, 0, v5
	s_wait_alu 0xf1ff
	s_delay_alu instid0(VALU_DEP_1) | instskip(NEXT) | instid1(VALU_DEP_1)
	v_cndmask_b32_e64 v5, 0, 1, s0
	v_and_or_b32 v21, 0xffe, v6, v5
	v_sub_nc_u32_e32 v5, 0x3f1, v25
	s_delay_alu instid0(VALU_DEP_2) | instskip(NEXT) | instid1(VALU_DEP_2)
	v_or_b32_e32 v6, 0x1000, v21
	v_med3_i32 v5, v5, 0, 13
	s_delay_alu instid0(VALU_DEP_1) | instskip(NEXT) | instid1(VALU_DEP_1)
	v_lshrrev_b32_e32 v26, v5, v6
	v_lshlrev_b32_e32 v5, v5, v26
	s_delay_alu instid0(VALU_DEP_1) | instskip(SKIP_1) | instid1(VALU_DEP_1)
	v_cmp_ne_u32_e64 s2, v5, v6
	v_cvt_f32_f16_e32 v5, v35
	v_cvt_f64_f32_e32 v[5:6], v5
	s_delay_alu instid0(VALU_DEP_1) | instskip(NEXT) | instid1(VALU_DEP_1)
	v_mul_f64_e32 v[5:6], s[12:13], v[5:6]
	v_and_or_b32 v5, 0x1ff, v6, v5
	v_lshrrev_b32_e32 v14, 8, v6
	v_bfe_u32 v27, v6, 20, 11
	s_delay_alu instid0(VALU_DEP_3) | instskip(SKIP_1) | instid1(VALU_DEP_1)
	v_cmp_ne_u32_e64 s0, 0, v5
	s_wait_alu 0xf1ff
	v_cndmask_b32_e64 v5, 0, 1, s0
	s_delay_alu instid0(VALU_DEP_1) | instskip(SKIP_1) | instid1(VALU_DEP_2)
	v_and_or_b32 v24, 0xffe, v14, v5
	v_sub_nc_u32_e32 v5, 0x3f1, v27
	v_or_b32_e32 v14, 0x1000, v24
	s_delay_alu instid0(VALU_DEP_2) | instskip(NEXT) | instid1(VALU_DEP_1)
	v_med3_i32 v5, v5, 0, 13
	v_lshrrev_b32_e32 v34, v5, v14
	s_delay_alu instid0(VALU_DEP_1) | instskip(NEXT) | instid1(VALU_DEP_1)
	v_lshlrev_b32_e32 v5, v5, v34
	v_cmp_ne_u32_e64 s3, v5, v14
	scratch_load_b32 v14, off, off offset:52 th:TH_LOAD_LU ; 4-byte Folded Reload
	v_lshrrev_b32_e32 v5, 16, v15
	s_wait_loadcnt 0x0
	s_delay_alu instid0(VALU_DEP_1) | instskip(SKIP_1) | instid1(VALU_DEP_2)
	v_mul_f16_e32 v35, v14, v5
	v_mul_f16_e32 v14, v14, v15
	v_fmac_f16_e32 v35, v18, v15
	s_delay_alu instid0(VALU_DEP_2) | instskip(SKIP_1) | instid1(VALU_DEP_1)
	v_fma_f16 v18, v18, v5, -v14
	v_cvt_f32_f16_e32 v5, v9
	v_cvt_f64_f32_e32 v[14:15], v5
	s_delay_alu instid0(VALU_DEP_1) | instskip(NEXT) | instid1(VALU_DEP_1)
	v_mul_f64_e32 v[14:15], s[12:13], v[14:15]
	v_and_or_b32 v5, 0x1ff, v15, v14
	v_lshrrev_b32_e32 v9, 8, v15
	s_delay_alu instid0(VALU_DEP_2) | instskip(SKIP_1) | instid1(VALU_DEP_1)
	v_cmp_ne_u32_e64 s0, 0, v5
	s_wait_alu 0xf1ff
	v_cndmask_b32_e64 v5, 0, 1, s0
	s_delay_alu instid0(VALU_DEP_1) | instskip(SKIP_1) | instid1(VALU_DEP_2)
	v_and_or_b32 v5, 0xffe, v9, v5
	v_bfe_u32 v9, v15, 20, 11
	v_or_b32_e32 v33, 0x1000, v5
	s_delay_alu instid0(VALU_DEP_2) | instskip(SKIP_1) | instid1(VALU_DEP_2)
	v_sub_nc_u32_e32 v14, 0x3f1, v9
	v_add_nc_u32_e32 v9, 0xfffffc10, v9
	v_med3_i32 v32, v14, 0, 13
	s_delay_alu instid0(VALU_DEP_1) | instskip(NEXT) | instid1(VALU_DEP_1)
	v_lshrrev_b32_e32 v14, v32, v33
	v_lshlrev_b32_e32 v32, v32, v14
	s_delay_alu instid0(VALU_DEP_1) | instskip(SKIP_1) | instid1(VALU_DEP_1)
	v_cmp_ne_u32_e64 s0, v32, v33
	v_cvt_f64_f32_e32 v[32:33], v7
	v_mul_f64_e32 v[32:33], s[12:13], v[32:33]
	s_delay_alu instid0(VALU_DEP_1) | instskip(SKIP_1) | instid1(VALU_DEP_2)
	v_and_or_b32 v7, 0x1ff, v33, v32
	v_lshrrev_b32_e32 v20, 8, v33
	v_cmp_ne_u32_e64 s5, 0, v7
	s_wait_alu 0xf1ff
	s_delay_alu instid0(VALU_DEP_1) | instskip(NEXT) | instid1(VALU_DEP_1)
	v_cndmask_b32_e64 v7, 0, 1, s5
	v_and_or_b32 v7, 0xffe, v20, v7
	v_bfe_u32 v20, v33, 20, 11
	s_delay_alu instid0(VALU_DEP_2) | instskip(NEXT) | instid1(VALU_DEP_2)
	v_or_b32_e32 v39, 0x1000, v7
	v_sub_nc_u32_e32 v32, 0x3f1, v20
	v_add_nc_u32_e32 v20, 0xfffffc10, v20
	s_delay_alu instid0(VALU_DEP_2) | instskip(NEXT) | instid1(VALU_DEP_1)
	v_med3_i32 v32, v32, 0, 13
	v_lshrrev_b32_e32 v40, v32, v39
	s_delay_alu instid0(VALU_DEP_1) | instskip(NEXT) | instid1(VALU_DEP_1)
	v_lshlrev_b32_e32 v32, v32, v40
	v_cmp_ne_u32_e64 s5, v32, v39
	v_lshl_or_b32 v39, v20, 12, v7
	s_wait_alu 0xf1ff
	s_delay_alu instid0(VALU_DEP_2) | instskip(SKIP_1) | instid1(VALU_DEP_2)
	v_cndmask_b32_e64 v32, 0, 1, s5
	v_cmp_gt_i32_e64 s5, 1, v20
	v_or_b32_e32 v32, v40, v32
	s_wait_alu 0xf1ff
	s_delay_alu instid0(VALU_DEP_1) | instskip(NEXT) | instid1(VALU_DEP_1)
	v_cndmask_b32_e64 v32, v39, v32, s5
	v_and_b32_e32 v39, 7, v32
	s_delay_alu instid0(VALU_DEP_1)
	v_cmp_lt_i32_e64 s5, 5, v39
	v_cmp_eq_u32_e64 s6, 3, v39
	s_wait_alu 0xfffd
	v_cndmask_b32_e64 v39, 0, 1, vcc_lo
	v_cmp_ne_u32_e32 vcc_lo, 0, v7
	v_lshl_or_b32 v7, v3, 12, v1
	s_or_b32 s5, s6, s5
	s_delay_alu instid0(VALU_DEP_3) | instskip(SKIP_2) | instid1(VALU_DEP_3)
	v_or_b32_e32 v12, v12, v39
	v_cmp_ne_u32_e64 s6, 0, v1
	v_lshrrev_b32_e32 v1, 16, v33
	v_cndmask_b32_e64 v7, v7, v12, s7
	v_lshrrev_b32_e32 v12, 2, v32
	s_wait_alu 0xfffd
	v_cndmask_b32_e64 v32, 0, 1, vcc_lo
	v_cmp_eq_u32_e32 vcc_lo, 0x40f, v20
	s_wait_alu 0xfffe
	v_add_co_ci_u32_e64 v12, s5, 0, v12, s5
	v_cmp_gt_i32_e64 s5, 31, v20
	v_lshl_or_b32 v32, v32, 9, 0x7c00
	v_and_b32_e32 v20, 7, v7
	v_lshrrev_b32_e32 v7, 2, v7
	s_wait_alu 0xf1ff
	v_cndmask_b32_e64 v12, 0x7c00, v12, s5
	s_delay_alu instid0(VALU_DEP_3) | instskip(SKIP_1) | instid1(VALU_DEP_2)
	v_cmp_eq_u32_e64 s5, 3, v20
	s_wait_alu 0xfffd
	v_cndmask_b32_e32 v12, v12, v32, vcc_lo
	v_cmp_lt_i32_e32 vcc_lo, 5, v20
	v_cndmask_b32_e64 v20, 0, 1, s6
	s_delay_alu instid0(VALU_DEP_3) | instskip(SKIP_1) | instid1(VALU_DEP_2)
	v_and_or_b32 v1, 0x8000, v1, v12
	s_or_b32 vcc_lo, s5, vcc_lo
	v_lshl_or_b32 v20, v20, 9, 0x7c00
	s_wait_alu 0xfffe
	v_add_co_ci_u32_e32 v7, vcc_lo, 0, v7, vcc_lo
	v_cmp_gt_i32_e32 vcc_lo, 31, v3
	v_add_nc_u32_e32 v12, 0xfffffc10, v22
	scratch_load_b32 v22, off, off offset:40 th:TH_LOAD_LU ; 4-byte Folded Reload
	v_and_b32_e32 v1, 0xffff, v1
	s_wait_alu 0xfffd
	v_cndmask_b32_e32 v7, 0x7c00, v7, vcc_lo
	v_cmp_eq_u32_e32 vcc_lo, 0x40f, v3
	s_wait_alu 0xfffd
	s_delay_alu instid0(VALU_DEP_2) | instskip(SKIP_4) | instid1(VALU_DEP_3)
	v_cndmask_b32_e32 v3, v7, v20, vcc_lo
	scratch_load_b32 v20, off, off offset:44 th:TH_LOAD_LU ; 4-byte Folded Reload
	v_lshrrev_b32_e32 v7, 16, v13
	v_lshl_or_b32 v13, v12, 12, v16
	v_cmp_gt_i32_e32 vcc_lo, 1, v12
	v_and_or_b32 v3, 0x8000, v7, v3
	v_cndmask_b32_e64 v7, 0, 1, s1
	s_delay_alu instid0(VALU_DEP_2) | instskip(NEXT) | instid1(VALU_DEP_2)
	v_lshl_or_b32 v1, v3, 16, v1
	v_or_b32_e32 v7, v23, v7
	global_store_b32 v[28:29], v1, off
	s_wait_alu 0xfffd
	v_cndmask_b32_e32 v7, v13, v7, vcc_lo
	v_add_nc_u32_e32 v13, 0xfffffc10, v36
	s_delay_alu instid0(VALU_DEP_2) | instskip(SKIP_1) | instid1(VALU_DEP_3)
	v_and_b32_e32 v3, 7, v7
	v_lshrrev_b32_e32 v7, 2, v7
	v_cmp_gt_i32_e64 s5, 1, v13
	s_delay_alu instid0(VALU_DEP_3) | instskip(SKIP_4) | instid1(VALU_DEP_4)
	v_cmp_lt_i32_e32 vcc_lo, 5, v3
	v_cmp_eq_u32_e64 s1, 3, v3
	v_cndmask_b32_e64 v3, 0, 1, s4
	v_cmp_ne_u32_e64 s4, 0, v16
	v_lshl_or_b32 v16, v13, 12, v30
	s_or_b32 vcc_lo, s1, vcc_lo
	s_delay_alu instid0(VALU_DEP_3) | instskip(SKIP_3) | instid1(VALU_DEP_3)
	v_or_b32_e32 v3, v37, v3
	s_wait_alu 0xfffe
	v_add_co_ci_u32_e32 v7, vcc_lo, 0, v7, vcc_lo
	v_cmp_gt_i32_e32 vcc_lo, 31, v12
	v_cndmask_b32_e64 v3, v16, v3, s5
	v_cndmask_b32_e64 v16, 0, 1, s4
	v_cmp_ne_u32_e64 s4, 0, v30
	s_wait_alu 0xfffd
	v_cndmask_b32_e32 v7, 0x7c00, v7, vcc_lo
	v_cmp_eq_u32_e32 vcc_lo, 0x40f, v12
	v_and_b32_e32 v12, 7, v3
	v_lshl_or_b32 v16, v16, 9, 0x7c00
	v_lshrrev_b32_e32 v3, 2, v3
	s_delay_alu instid0(VALU_DEP_3) | instskip(SKIP_1) | instid1(VALU_DEP_3)
	v_cmp_eq_u32_e64 s1, 3, v12
	s_wait_alu 0xfffd
	v_cndmask_b32_e32 v7, v7, v16, vcc_lo
	v_cmp_lt_i32_e32 vcc_lo, 5, v12
	s_wait_alu 0xf1ff
	v_cndmask_b32_e64 v16, 0, 1, s4
	v_lshrrev_b32_e32 v12, 16, v17
	s_or_b32 vcc_lo, s1, vcc_lo
	s_delay_alu instid0(VALU_DEP_2)
	v_lshl_or_b32 v16, v16, 9, 0x7c00
	s_wait_alu 0xfffe
	v_add_co_ci_u32_e32 v3, vcc_lo, 0, v3, vcc_lo
	v_cmp_gt_i32_e32 vcc_lo, 31, v13
	v_and_or_b32 v7, 0x8000, v12, v7
	s_wait_alu 0xfffd
	s_delay_alu instid0(VALU_DEP_3) | instskip(SKIP_3) | instid1(VALU_DEP_3)
	v_cndmask_b32_e32 v3, 0x7c00, v3, vcc_lo
	v_cmp_eq_u32_e32 vcc_lo, 0x40f, v13
	v_lshrrev_b32_e32 v13, 16, v31
	s_wait_alu 0xfffd
	v_cndmask_b32_e32 v3, v3, v16, vcc_lo
	s_delay_alu instid0(VALU_DEP_1) | instskip(SKIP_2) | instid1(VALU_DEP_1)
	v_and_or_b32 v1, 0x8000, v13, v3
	v_mad_co_u64_u32 v[12:13], null, 0xffffcf40, s8, v[28:29]
	v_and_b32_e32 v3, 0xffff, v7
	v_lshl_or_b32 v1, v1, 16, v3
	s_delay_alu instid0(VALU_DEP_3)
	v_add_nc_u32_e32 v13, s14, v13
	global_store_b32 v[12:13], v1, off
	v_cvt_f32_f16_e32 v1, v38
	v_add_co_u32 v12, vcc_lo, v12, s10
	s_wait_alu 0xfffd
	v_add_co_ci_u32_e32 v13, vcc_lo, s11, v13, vcc_lo
	s_delay_alu instid0(VALU_DEP_3) | instskip(NEXT) | instid1(VALU_DEP_1)
	v_cvt_f64_f32_e32 v[16:17], v1
	v_mul_f64_e32 v[16:17], s[12:13], v[16:17]
	s_delay_alu instid0(VALU_DEP_1) | instskip(SKIP_3) | instid1(VALU_DEP_4)
	v_and_or_b32 v1, 0x1ff, v17, v16
	v_lshrrev_b32_e32 v3, 8, v17
	v_bfe_u32 v16, v17, 20, 11
	v_lshrrev_b32_e32 v17, 16, v17
	v_cmp_ne_u32_e32 vcc_lo, 0, v1
	s_wait_alu 0xfffd
	v_cndmask_b32_e64 v1, 0, 1, vcc_lo
	s_delay_alu instid0(VALU_DEP_1) | instskip(SKIP_1) | instid1(VALU_DEP_2)
	v_and_or_b32 v1, 0xffe, v3, v1
	v_sub_nc_u32_e32 v3, 0x3f1, v16
	v_or_b32_e32 v7, 0x1000, v1
	s_delay_alu instid0(VALU_DEP_2) | instskip(NEXT) | instid1(VALU_DEP_1)
	v_med3_i32 v3, v3, 0, 13
	v_lshrrev_b32_e32 v28, v3, v7
	s_delay_alu instid0(VALU_DEP_1) | instskip(NEXT) | instid1(VALU_DEP_1)
	v_lshlrev_b32_e32 v3, v3, v28
	v_cmp_ne_u32_e32 vcc_lo, v3, v7
	v_lshrrev_b32_e32 v3, 16, v4
	s_wait_loadcnt 0x0
	s_delay_alu instid0(VALU_DEP_1) | instskip(SKIP_1) | instid1(VALU_DEP_2)
	v_mul_f16_e32 v7, v20, v3
	v_mul_f16_e32 v20, v20, v4
	v_fmac_f16_e32 v7, v22, v4
	s_delay_alu instid0(VALU_DEP_2) | instskip(SKIP_1) | instid1(VALU_DEP_3)
	v_fma_f16 v29, v22, v3, -v20
	v_cvt_f32_f16_e32 v3, v35
	v_cvt_f32_f16_e32 v7, v7
	s_delay_alu instid0(VALU_DEP_2) | instskip(NEXT) | instid1(VALU_DEP_1)
	v_cvt_f64_f32_e32 v[3:4], v3
	v_mul_f64_e32 v[22:23], s[12:13], v[3:4]
	s_delay_alu instid0(VALU_DEP_1) | instskip(SKIP_1) | instid1(VALU_DEP_2)
	v_and_or_b32 v3, 0x1ff, v23, v22
	v_lshrrev_b32_e32 v4, 8, v23
	v_cmp_ne_u32_e64 s1, 0, v3
	s_wait_alu 0xf1ff
	s_delay_alu instid0(VALU_DEP_1) | instskip(NEXT) | instid1(VALU_DEP_1)
	v_cndmask_b32_e64 v3, 0, 1, s1
	v_and_or_b32 v22, 0xffe, v4, v3
	v_cndmask_b32_e64 v3, 0, 1, s2
	v_add_nc_u32_e32 v4, 0xfffffc10, v25
	v_add_nc_u32_e32 v25, 0xfffffc10, v27
	s_delay_alu instid0(VALU_DEP_3) | instskip(NEXT) | instid1(VALU_DEP_3)
	v_or_b32_e32 v3, v26, v3
	v_lshl_or_b32 v20, v4, 12, v21
	v_cmp_gt_i32_e64 s1, 1, v4
	s_delay_alu instid0(VALU_DEP_4) | instskip(SKIP_1) | instid1(VALU_DEP_2)
	v_lshl_or_b32 v26, v25, 12, v24
	s_wait_alu 0xf1ff
	v_cndmask_b32_e64 v3, v20, v3, s1
	v_cndmask_b32_e64 v20, 0, 1, s3
	v_cmp_gt_i32_e64 s1, 1, v25
	v_cmp_ne_u32_e64 s3, 0, v21
	s_delay_alu instid0(VALU_DEP_3) | instskip(SKIP_1) | instid1(VALU_DEP_1)
	v_or_b32_e32 v20, v34, v20
	s_wait_alu 0xf1ff
	v_cndmask_b32_e64 v20, v26, v20, s1
	v_and_b32_e32 v26, 7, v3
	v_lshrrev_b32_e32 v3, 2, v3
	s_delay_alu instid0(VALU_DEP_3) | instskip(NEXT) | instid1(VALU_DEP_3)
	v_and_b32_e32 v21, 7, v20
	v_cmp_lt_i32_e64 s1, 5, v26
	v_cmp_eq_u32_e64 s2, 3, v26
	v_bfe_u32 v26, v23, 20, 11
	v_lshrrev_b32_e32 v23, 16, v23
	v_cmp_lt_i32_e64 s4, 5, v21
	v_cmp_eq_u32_e64 s5, 3, v21
	s_or_b32 s1, s2, s1
	v_cndmask_b32_e64 v21, 0, 1, s3
	s_wait_alu 0xfffe
	v_add_co_ci_u32_e64 v3, s1, 0, v3, s1
	v_cmp_gt_i32_e64 s1, 31, v4
	s_or_b32 s2, s5, s4
	v_lshl_or_b32 v21, v21, 9, 0x7c00
	s_delay_alu instid0(VALU_DEP_2) | instskip(SKIP_2) | instid1(VALU_DEP_1)
	v_cndmask_b32_e64 v3, 0x7c00, v3, s1
	v_cmp_eq_u32_e64 s1, 0x40f, v4
	s_wait_alu 0xf1ff
	v_cndmask_b32_e64 v21, v3, v21, s1
	v_lshrrev_b32_e32 v3, 2, v20
	v_cmp_ne_u32_e64 s1, 0, v24
	v_lshrrev_b32_e32 v24, 16, v19
	s_wait_alu 0xfffe
	s_delay_alu instid0(VALU_DEP_3) | instskip(SKIP_4) | instid1(VALU_DEP_3)
	v_add_co_ci_u32_e64 v3, s2, 0, v3, s2
	v_cmp_gt_i32_e64 s2, 31, v25
	s_wait_alu 0xf1ff
	v_cndmask_b32_e64 v4, 0, 1, s1
	v_cmp_eq_u32_e64 s1, 0x40f, v25
	v_cndmask_b32_e64 v3, 0x7c00, v3, s2
	s_delay_alu instid0(VALU_DEP_3) | instskip(SKIP_1) | instid1(VALU_DEP_1)
	v_lshl_or_b32 v4, v4, 9, 0x7c00
	s_wait_alu 0xf1ff
	v_cndmask_b32_e64 v25, v3, v4, s1
	v_cvt_f64_f32_e32 v[3:4], v7
	v_or_b32_e32 v7, 0x1000, v22
	s_delay_alu instid0(VALU_DEP_2) | instskip(SKIP_4) | instid1(VALU_DEP_4)
	v_mul_f64_e32 v[19:20], s[12:13], v[3:4]
	v_lshrrev_b32_e32 v3, 16, v6
	v_and_or_b32 v4, 0x8000, v24, v21
	v_sub_nc_u32_e32 v6, 0x3f1, v26
	v_add_nc_u32_e32 v26, 0xfffffc10, v26
	v_and_or_b32 v3, 0x8000, v3, v25
	s_delay_alu instid0(VALU_DEP_4) | instskip(SKIP_3) | instid1(VALU_DEP_2)
	v_and_b32_e32 v4, 0xffff, v4
	scratch_load_b32 v25, off, off offset:32 th:TH_LOAD_LU ; 4-byte Folded Reload
	v_med3_i32 v6, v6, 0, 13
	v_lshl_or_b32 v3, v3, 16, v4
	v_lshrrev_b32_e32 v21, v6, v7
	global_store_b32 v[12:13], v3, off
	v_add_co_u32 v3, s2, v12, s10
	scratch_load_b32 v12, off, off offset:36 th:TH_LOAD_LU ; 4-byte Folded Reload
	v_lshlrev_b32_e32 v4, v6, v21
	v_lshrrev_b32_e32 v6, 16, v11
	s_delay_alu instid0(VALU_DEP_2) | instskip(SKIP_4) | instid1(VALU_DEP_2)
	v_cmp_ne_u32_e64 s1, v4, v7
	s_wait_alu 0xf1ff
	v_add_co_ci_u32_e64 v4, s2, s11, v13, s2
	v_and_or_b32 v7, 0x1ff, v20, v19
	v_bfe_u32 v19, v20, 20, 11
	v_cmp_ne_u32_e64 s2, 0, v7
	s_wait_alu 0xf1ff
	s_delay_alu instid0(VALU_DEP_1) | instskip(SKIP_3) | instid1(VALU_DEP_2)
	v_cndmask_b32_e64 v7, 0, 1, s2
	s_wait_loadcnt 0x0
	v_mul_f16_e32 v13, v12, v6
	v_mul_f16_e32 v12, v12, v11
	v_fmac_f16_e32 v13, v25, v11
	v_lshrrev_b32_e32 v11, 8, v20
	s_delay_alu instid0(VALU_DEP_3) | instskip(SKIP_1) | instid1(VALU_DEP_4)
	v_fma_f16 v25, v25, v6, -v12
	v_lshrrev_b32_e32 v20, 16, v20
	v_cvt_f32_f16_e32 v13, v13
	s_delay_alu instid0(VALU_DEP_4) | instskip(SKIP_3) | instid1(VALU_DEP_3)
	v_and_or_b32 v24, 0xffe, v11, v7
	v_sub_nc_u32_e32 v7, 0x3f1, v19
	v_cvt_f32_f16_e32 v11, v18
	v_add_nc_u32_e32 v19, 0xfffffc10, v19
	v_med3_i32 v6, v7, 0, 13
	v_or_b32_e32 v7, 0x1000, v24
	s_delay_alu instid0(VALU_DEP_1) | instskip(NEXT) | instid1(VALU_DEP_1)
	v_lshrrev_b32_e32 v27, v6, v7
	v_lshlrev_b32_e32 v6, v6, v27
	s_delay_alu instid0(VALU_DEP_1) | instskip(SKIP_1) | instid1(VALU_DEP_1)
	v_cmp_ne_u32_e64 s2, v6, v7
	v_cvt_f64_f32_e32 v[6:7], v11
	v_mul_f64_e32 v[6:7], s[12:13], v[6:7]
	s_delay_alu instid0(VALU_DEP_1) | instskip(SKIP_1) | instid1(VALU_DEP_2)
	v_and_or_b32 v6, 0x1ff, v7, v6
	v_lshrrev_b32_e32 v11, 8, v7
	v_cmp_ne_u32_e64 s3, 0, v6
	s_wait_alu 0xf1ff
	s_delay_alu instid0(VALU_DEP_1) | instskip(NEXT) | instid1(VALU_DEP_1)
	v_cndmask_b32_e64 v6, 0, 1, s3
	v_and_or_b32 v18, 0xffe, v11, v6
	v_cndmask_b32_e64 v6, 0, 1, s0
	v_lshl_or_b32 v11, v9, 12, v5
	v_cmp_gt_i32_e64 s0, 1, v9
	s_delay_alu instid0(VALU_DEP_3) | instskip(SKIP_1) | instid1(VALU_DEP_1)
	v_or_b32_e32 v6, v14, v6
	s_wait_alu 0xf1ff
	v_cndmask_b32_e64 v6, v11, v6, s0
	v_cvt_f32_f16_e32 v11, v29
	s_delay_alu instid0(VALU_DEP_1) | instskip(NEXT) | instid1(VALU_DEP_1)
	v_cvt_f64_f32_e32 v[11:12], v11
	v_mul_f64_e32 v[11:12], s[12:13], v[11:12]
	s_delay_alu instid0(VALU_DEP_1) | instskip(SKIP_1) | instid1(VALU_DEP_2)
	v_and_or_b32 v11, 0x1ff, v12, v11
	v_lshrrev_b32_e32 v14, 8, v12
	v_cmp_ne_u32_e64 s0, 0, v11
	s_wait_alu 0xf1ff
	s_delay_alu instid0(VALU_DEP_1) | instskip(NEXT) | instid1(VALU_DEP_1)
	v_cndmask_b32_e64 v11, 0, 1, s0
	v_and_or_b32 v11, 0xffe, v14, v11
	v_and_b32_e32 v14, 7, v6
	v_lshrrev_b32_e32 v6, 2, v6
	s_delay_alu instid0(VALU_DEP_3) | instskip(NEXT) | instid1(VALU_DEP_3)
	v_or_b32_e32 v29, 0x1000, v11
	v_cmp_lt_i32_e64 s0, 5, v14
	v_cmp_eq_u32_e64 s3, 3, v14
	s_wait_alu 0xfffd
	v_cndmask_b32_e64 v14, 0, 1, vcc_lo
	v_cmp_ne_u32_e32 vcc_lo, 0, v5
	v_add_nc_u32_e32 v5, 0xfffffc10, v16
	s_or_b32 s0, s3, s0
	s_delay_alu instid0(VALU_DEP_3)
	v_or_b32_e32 v14, v28, v14
	s_wait_alu 0xfffe
	v_add_co_ci_u32_e64 v6, s0, 0, v6, s0
	v_lshl_or_b32 v16, v5, 12, v1
	v_cmp_gt_i32_e64 s4, 1, v5
	v_cmp_gt_i32_e64 s0, 31, v9
	s_wait_alu 0xf1ff
	s_delay_alu instid0(VALU_DEP_2)
	v_cndmask_b32_e64 v14, v16, v14, s4
	s_wait_alu 0xfffd
	v_cndmask_b32_e64 v16, 0, 1, vcc_lo
	v_cndmask_b32_e64 v6, 0x7c00, v6, s0
	v_cmp_eq_u32_e32 vcc_lo, 0x40f, v9
	v_lshrrev_b32_e32 v9, 16, v15
	v_and_b32_e32 v15, 7, v14
	v_lshl_or_b32 v16, v16, 9, 0x7c00
	v_lshrrev_b32_e32 v14, 2, v14
	s_delay_alu instid0(VALU_DEP_3) | instskip(SKIP_1) | instid1(VALU_DEP_3)
	v_cmp_eq_u32_e64 s0, 3, v15
	s_wait_alu 0xfffd
	v_cndmask_b32_e32 v6, v6, v16, vcc_lo
	v_cmp_lt_i32_e32 vcc_lo, 5, v15
	v_bfe_u32 v15, v7, 20, 11
	v_or_b32_e32 v16, 0x1000, v18
	v_lshrrev_b32_e32 v7, 16, v7
	v_and_or_b32 v9, 0x8000, v9, v6
	s_or_b32 vcc_lo, s0, vcc_lo
	v_sub_nc_u32_e32 v6, 0x3f1, v15
	s_wait_alu 0xfffe
	v_add_co_ci_u32_e32 v14, vcc_lo, 0, v14, vcc_lo
	v_cmp_ne_u32_e32 vcc_lo, 0, v1
	v_add_nc_u32_e32 v15, 0xfffffc10, v15
	v_med3_i32 v6, v6, 0, 13
	v_and_b32_e32 v9, 0xffff, v9
	s_wait_alu 0xfffd
	v_cndmask_b32_e64 v1, 0, 1, vcc_lo
	v_cmp_gt_i32_e32 vcc_lo, 31, v5
	s_delay_alu instid0(VALU_DEP_2)
	v_lshl_or_b32 v1, v1, 9, 0x7c00
	s_wait_alu 0xfffd
	v_cndmask_b32_e32 v14, 0x7c00, v14, vcc_lo
	v_cmp_eq_u32_e32 vcc_lo, 0x40f, v5
	v_cndmask_b32_e64 v5, 0, 1, s1
	s_wait_alu 0xfffd
	s_delay_alu instid0(VALU_DEP_3) | instskip(SKIP_1) | instid1(VALU_DEP_3)
	v_cndmask_b32_e32 v1, v14, v1, vcc_lo
	v_lshrrev_b32_e32 v14, v6, v16
	v_or_b32_e32 v21, v21, v5
	s_delay_alu instid0(VALU_DEP_3) | instskip(NEXT) | instid1(VALU_DEP_3)
	v_and_or_b32 v1, 0x8000, v17, v1
	v_lshlrev_b32_e32 v28, v6, v14
	v_cvt_f64_f32_e32 v[5:6], v13
	v_bfe_u32 v17, v12, 20, 11
	s_delay_alu instid0(VALU_DEP_4) | instskip(NEXT) | instid1(VALU_DEP_4)
	v_lshl_or_b32 v1, v1, 16, v9
	v_cmp_ne_u32_e32 vcc_lo, v28, v16
	v_lshl_or_b32 v16, v26, 12, v22
	global_store_b32 v[3:4], v1, off
	s_wait_alu 0xfffd
	v_cndmask_b32_e64 v13, 0, 1, vcc_lo
	v_cmp_gt_i32_e32 vcc_lo, 1, v26
	s_delay_alu instid0(VALU_DEP_2)
	v_or_b32_e32 v13, v14, v13
	v_lshl_or_b32 v14, v15, 12, v18
	s_wait_alu 0xfffd
	v_cndmask_b32_e32 v16, v16, v21, vcc_lo
	v_cmp_gt_i32_e32 vcc_lo, 1, v15
	v_sub_nc_u32_e32 v21, 0x3f1, v17
	v_add_nc_u32_e32 v17, 0xfffffc10, v17
	s_wait_alu 0xfffd
	v_dual_cndmask_b32 v28, v14, v13 :: v_dual_and_b32 v13, 7, v16
	s_delay_alu instid0(VALU_DEP_3) | instskip(SKIP_2) | instid1(VALU_DEP_4)
	v_med3_i32 v21, v21, 0, 13
	v_cvt_f32_f16_e32 v14, v25
	v_cndmask_b32_e64 v25, 0, 1, s2
	v_and_b32_e32 v9, 7, v28
	v_cmp_lt_i32_e32 vcc_lo, 5, v13
	v_cmp_eq_u32_e64 s0, 3, v13
	v_lshrrev_b32_e32 v13, 2, v16
	v_lshrrev_b32_e32 v16, v21, v29
	v_cmp_lt_i32_e64 s1, 5, v9
	v_cmp_eq_u32_e64 s3, 3, v9
	s_or_b32 vcc_lo, s0, vcc_lo
	v_or_b32_e32 v25, v27, v25
	s_wait_alu 0xfffe
	v_add_co_ci_u32_e32 v9, vcc_lo, 0, v13, vcc_lo
	v_cmp_ne_u32_e32 vcc_lo, 0, v22
	v_lshlrev_b32_e32 v21, v21, v16
	v_cmp_gt_i32_e64 s0, 1, v17
	v_mul_f64_e32 v[5:6], s[12:13], v[5:6]
	scratch_load_b32 v27, off, off offset:20 th:TH_LOAD_LU ; 4-byte Folded Reload
	s_wait_alu 0xfffd
	v_cndmask_b32_e64 v13, 0, 1, vcc_lo
	v_cmp_gt_i32_e32 vcc_lo, 31, v26
	s_delay_alu instid0(VALU_DEP_2)
	v_lshl_or_b32 v22, v13, 9, 0x7c00
	s_wait_alu 0xfffd
	v_cndmask_b32_e32 v9, 0x7c00, v9, vcc_lo
	v_cmp_eq_u32_e32 vcc_lo, 0x40f, v26
	v_lshl_or_b32 v26, v19, 12, v24
	v_cvt_f64_f32_e32 v[13:14], v14
	s_wait_alu 0xfffd
	v_cndmask_b32_e32 v9, v9, v22, vcc_lo
	v_lshrrev_b32_e32 v22, 2, v28
	s_or_b32 vcc_lo, s3, s1
	scratch_load_b32 v28, off, off offset:8 th:TH_LOAD_LU ; 4-byte Folded Reload
	v_and_or_b32 v9, 0x8000, v23, v9
	s_wait_alu 0xfffe
	v_add_co_ci_u32_e32 v22, vcc_lo, 0, v22, vcc_lo
	v_cmp_ne_u32_e32 vcc_lo, 0, v18
	s_delay_alu instid0(VALU_DEP_3) | instskip(SKIP_3) | instid1(VALU_DEP_2)
	v_and_b32_e32 v9, 0xffff, v9
	s_wait_alu 0xfffd
	v_cndmask_b32_e64 v18, 0, 1, vcc_lo
	v_cmp_gt_i32_e32 vcc_lo, 31, v15
	v_lshl_or_b32 v18, v18, 9, 0x7c00
	s_wait_alu 0xfffd
	v_cndmask_b32_e32 v22, 0x7c00, v22, vcc_lo
	v_cmp_gt_i32_e32 vcc_lo, 1, v19
	v_and_or_b32 v1, 0x1ff, v6, v5
	s_wait_alu 0xfffd
	v_cndmask_b32_e32 v25, v26, v25, vcc_lo
	v_cmp_eq_u32_e32 vcc_lo, 0x40f, v15
	scratch_load_b32 v26, off, off offset:24 th:TH_LOAD_LU ; 4-byte Folded Reload
	v_cmp_ne_u32_e64 s1, 0, v1
	s_wait_alu 0xfffd
	v_cndmask_b32_e32 v15, v22, v18, vcc_lo
	v_cmp_ne_u32_e32 vcc_lo, v21, v29
	v_and_b32_e32 v21, 7, v25
	s_wait_alu 0xf1ff
	v_cndmask_b32_e64 v1, 0, 1, s1
	v_mul_f64_e32 v[13:14], s[12:13], v[13:14]
	v_and_or_b32 v7, 0x8000, v7, v15
	s_wait_alu 0xfffd
	v_cndmask_b32_e64 v18, 0, 1, vcc_lo
	v_cmp_lt_i32_e32 vcc_lo, 5, v21
	v_bfe_u32 v22, v6, 20, 11
	scratch_load_b32 v29, off, off offset:12 th:TH_LOAD_LU ; 4-byte Folded Reload
	v_lshl_or_b32 v7, v7, 16, v9
	v_or_b32_e32 v16, v16, v18
	v_lshl_or_b32 v18, v17, 12, v11
	s_delay_alu instid0(VALU_DEP_1)
	v_cndmask_b32_e64 v15, v18, v16, s0
	v_lshrrev_b32_e32 v18, 2, v25
	scratch_load_b32 v25, off, off offset:28 th:TH_LOAD_LU ; 4-byte Folded Reload
	v_lshrrev_b32_e32 v16, 16, v2
	v_cmp_eq_u32_e64 s0, 3, v21
	v_and_b32_e32 v5, 7, v15
	v_lshrrev_b32_e32 v15, 2, v15
	s_delay_alu instid0(VALU_DEP_3) | instskip(NEXT) | instid1(VALU_DEP_2)
	s_or_b32 vcc_lo, s0, vcc_lo
	v_cmp_lt_i32_e64 s1, 5, v5
	s_wait_alu 0xfffe
	v_add_co_ci_u32_e32 v18, vcc_lo, 0, v18, vcc_lo
	v_cmp_eq_u32_e64 s2, 3, v5
	v_lshrrev_b32_e32 v5, 8, v6
	v_cmp_ne_u32_e32 vcc_lo, 0, v24
	s_delay_alu instid0(VALU_DEP_2) | instskip(SKIP_3) | instid1(VALU_DEP_2)
	v_and_or_b32 v5, 0xffe, v5, v1
	s_wait_alu 0xfffd
	v_cndmask_b32_e64 v1, 0, 1, vcc_lo
	v_cmp_gt_i32_e32 vcc_lo, 31, v19
	v_lshl_or_b32 v23, v1, 9, 0x7c00
	s_wait_alu 0xfffd
	v_cndmask_b32_e32 v18, 0x7c00, v18, vcc_lo
	v_cmp_eq_u32_e32 vcc_lo, 0x40f, v19
	v_and_or_b32 v13, 0x1ff, v14, v13
	s_wait_alu 0xfffd
	s_delay_alu instid0(VALU_DEP_3)
	v_cndmask_b32_e32 v18, v18, v23, vcc_lo
	s_or_b32 vcc_lo, s2, s1
	s_wait_alu 0xfffe
	v_add_co_ci_u32_e32 v15, vcc_lo, 0, v15, vcc_lo
	v_cmp_ne_u32_e32 vcc_lo, 0, v11
	s_wait_alu 0xfffd
	v_cndmask_b32_e64 v11, 0, 1, vcc_lo
	v_cmp_gt_i32_e32 vcc_lo, 31, v17
	s_delay_alu instid0(VALU_DEP_2)
	v_lshl_or_b32 v11, v11, 9, 0x7c00
	s_wait_alu 0xfffd
	v_cndmask_b32_e32 v23, 0x7c00, v15, vcc_lo
	v_cmp_ne_u32_e32 vcc_lo, 0, v13
	s_wait_alu 0xfffd
	v_cndmask_b32_e64 v13, 0, 1, vcc_lo
	s_wait_loadcnt 0x0
	v_mul_f16_e32 v21, v25, v16
	v_mul_f16_e32 v24, v25, v2
	v_sub_nc_u32_e32 v25, 0x3f1, v22
	v_add_nc_u32_e32 v22, 0xfffffc10, v22
	s_delay_alu instid0(VALU_DEP_4) | instskip(NEXT) | instid1(VALU_DEP_4)
	v_fmac_f16_e32 v21, v26, v2
	v_fma_f16 v16, v26, v16, -v24
	s_delay_alu instid0(VALU_DEP_4) | instskip(SKIP_1) | instid1(VALU_DEP_4)
	v_med3_i32 v25, v25, 0, 13
	v_bfe_u32 v26, v14, 20, 11
	v_cvt_f32_f16_e32 v21, v21
	s_delay_alu instid0(VALU_DEP_4) | instskip(NEXT) | instid1(VALU_DEP_2)
	v_cvt_f32_f16_e32 v15, v16
	v_cvt_f64_f32_e32 v[1:2], v21
	v_or_b32_e32 v21, 0x1000, v5
	s_delay_alu instid0(VALU_DEP_3) | instskip(NEXT) | instid1(VALU_DEP_2)
	v_cvt_f64_f32_e32 v[15:16], v15
	v_lshrrev_b32_e32 v19, v25, v21
	s_delay_alu instid0(VALU_DEP_1) | instskip(SKIP_2) | instid1(VALU_DEP_3)
	v_lshlrev_b32_e32 v24, v25, v19
	v_lshrrev_b32_e32 v25, 8, v14
	v_lshrrev_b32_e32 v14, 16, v14
	v_cmp_ne_u32_e32 vcc_lo, v24, v21
	s_delay_alu instid0(VALU_DEP_3)
	v_and_or_b32 v13, 0xffe, v25, v13
	v_sub_nc_u32_e32 v24, 0x3f1, v26
	v_lshrrev_b32_e32 v25, 16, v12
	s_wait_alu 0xfffd
	v_cndmask_b32_e64 v21, 0, 1, vcc_lo
	v_cmp_eq_u32_e32 vcc_lo, 0x40f, v17
	v_med3_i32 v24, v24, 0, 13
	s_delay_alu instid0(VALU_DEP_3)
	v_or_b32_e32 v19, v19, v21
	s_wait_alu 0xfffd
	v_cndmask_b32_e32 v17, v23, v11, vcc_lo
	v_lshl_or_b32 v21, v22, 12, v5
	v_cmp_gt_i32_e32 vcc_lo, 1, v22
	v_or_b32_e32 v23, 0x1000, v13
	s_delay_alu instid0(VALU_DEP_4)
	v_and_or_b32 v9, 0x8000, v25, v17
	v_mul_f64_e32 v[11:12], s[12:13], v[1:2]
	s_wait_alu 0xfffd
	v_dual_cndmask_b32 v2, v21, v19 :: v_dual_add_nc_u32 v21, 0xfffffc10, v26
	scratch_load_b32 v26, off, off offset:16 th:TH_LOAD_LU ; 4-byte Folded Reload
	v_and_or_b32 v1, 0x8000, v20, v18
	v_lshrrev_b32_e32 v18, v24, v23
	v_and_b32_e32 v17, 7, v2
	v_lshrrev_b32_e32 v20, 16, v10
	v_add_co_u32 v3, vcc_lo, v3, s10
	s_delay_alu instid0(VALU_DEP_4)
	v_lshlrev_b32_e32 v19, v24, v18
	s_wait_alu 0xfffd
	v_add_co_ci_u32_e32 v4, vcc_lo, s11, v4, vcc_lo
	v_cmp_lt_i32_e32 vcc_lo, 5, v17
	v_cmp_eq_u32_e64 s0, 3, v17
	v_mul_f16_e32 v17, v27, v20
	v_lshrrev_b32_e32 v2, 2, v2
	v_cmp_ne_u32_e64 s1, v19, v23
	v_mul_f64_e32 v[15:16], s[12:13], v[15:16]
	s_or_b32 vcc_lo, s0, vcc_lo
	v_and_b32_e32 v1, 0xffff, v1
	s_wait_alu 0xfffe
	v_add_co_ci_u32_e32 v2, vcc_lo, 0, v2, vcc_lo
	v_cndmask_b32_e64 v19, 0, 1, s1
	v_cmp_ne_u32_e32 vcc_lo, 0, v5
	v_lshl_or_b32 v23, v21, 12, v13
	v_lshl_or_b32 v24, v9, 16, v1
	s_delay_alu instid0(VALU_DEP_4) | instskip(SKIP_3) | instid1(VALU_DEP_2)
	v_or_b32_e32 v19, v18, v19
	s_wait_alu 0xfffd
	v_cndmask_b32_e64 v5, 0, 1, vcc_lo
	v_cmp_gt_i32_e32 vcc_lo, 1, v21
	v_lshl_or_b32 v5, v5, 9, 0x7c00
	s_wait_alu 0xfffd
	v_cndmask_b32_e32 v9, v23, v19, vcc_lo
	v_cmp_gt_i32_e32 vcc_lo, 31, v22
	v_and_or_b32 v11, 0x1ff, v12, v11
	s_delay_alu instid0(VALU_DEP_3)
	v_and_b32_e32 v23, 7, v9
	s_wait_alu 0xfffd
	v_cndmask_b32_e32 v19, 0x7c00, v2, vcc_lo
	v_add_co_u32 v1, vcc_lo, v3, s10
	s_wait_alu 0xfffd
	v_add_co_ci_u32_e32 v2, vcc_lo, s11, v4, vcc_lo
	v_cmp_eq_u32_e32 vcc_lo, 0x40f, v22
	v_cmp_ne_u32_e64 s0, 0, v11
	v_lshrrev_b32_e32 v11, 8, v12
	v_bfe_u32 v22, v12, 20, 11
	global_store_b32 v[3:4], v7, off
	global_store_b32 v[1:2], v24, off
	s_wait_alu 0xfffd
	v_cndmask_b32_e32 v19, v19, v5, vcc_lo
	v_cmp_lt_i32_e32 vcc_lo, 5, v23
	s_wait_alu 0xf1ff
	v_cndmask_b32_e64 v5, 0, 1, s0
	v_cmp_eq_u32_e64 s0, 3, v23
	v_lshrrev_b32_e32 v23, 16, v6
	v_lshrrev_b32_e32 v6, 2, v9
	v_mul_f16_e32 v9, v27, v10
	v_and_or_b32 v11, 0xffe, v11, v5
	s_or_b32 vcc_lo, s0, vcc_lo
	v_sub_nc_u32_e32 v5, 0x3f1, v22
	s_wait_alu 0xfffe
	v_add_co_ci_u32_e32 v6, vcc_lo, 0, v6, vcc_lo
	v_cmp_ne_u32_e32 vcc_lo, 0, v13
	v_or_b32_e32 v25, 0x1000, v11
	v_med3_i32 v5, v5, 0, 13
	v_and_or_b32 v13, 0x1ff, v16, v15
	scratch_load_b32 v24, off, off th:TH_LOAD_LU ; 4-byte Folded Reload
	v_add_nc_u32_e32 v22, 0xfffffc10, v22
	v_and_or_b32 v19, 0x8000, v23, v19
	v_lshrrev_b32_e32 v15, v5, v25
	v_lshrrev_b32_e32 v12, 16, v12
	s_delay_alu instid0(VALU_DEP_3) | instskip(NEXT) | instid1(VALU_DEP_3)
	v_and_b32_e32 v19, 0xffff, v19
	v_lshlrev_b32_e32 v27, v5, v15
	s_wait_loadcnt 0x1
	v_fmac_f16_e32 v17, v26, v10
	s_wait_alu 0xfffd
	v_cndmask_b32_e64 v10, 0, 1, vcc_lo
	v_cmp_gt_i32_e32 vcc_lo, 31, v21
	v_fma_f16 v9, v26, v20, -v9
	v_cvt_f32_f16_e32 v17, v17
	s_delay_alu instid0(VALU_DEP_4)
	v_lshl_or_b32 v26, v10, 9, 0x7c00
	s_wait_alu 0xfffd
	v_cndmask_b32_e32 v20, 0x7c00, v6, vcc_lo
	v_cmp_ne_u32_e32 vcc_lo, 0, v13
	v_cvt_f32_f16_e32 v9, v9
	v_cvt_f64_f32_e32 v[17:18], v17
	s_wait_alu 0xfffd
	v_cndmask_b32_e64 v13, 0, 1, vcc_lo
	v_cmp_eq_u32_e32 vcc_lo, 0x40f, v21
	v_cvt_f64_f32_e32 v[9:10], v9
	s_wait_alu 0xfffd
	v_cndmask_b32_e32 v20, v20, v26, vcc_lo
	v_cmp_ne_u32_e32 vcc_lo, v27, v25
	v_lshrrev_b32_e32 v26, 16, v0
	s_delay_alu instid0(VALU_DEP_3) | instskip(SKIP_3) | instid1(VALU_DEP_3)
	v_and_or_b32 v14, 0x8000, v14, v20
	s_wait_alu 0xfffd
	v_cndmask_b32_e64 v21, 0, 1, vcc_lo
	v_cmp_gt_i32_e32 vcc_lo, 1, v22
	v_lshl_or_b32 v3, v14, 16, v19
	s_delay_alu instid0(VALU_DEP_3) | instskip(SKIP_2) | instid1(VALU_DEP_1)
	v_or_b32_e32 v15, v15, v21
	v_lshl_or_b32 v21, v22, 12, v11
	s_wait_alu 0xfffd
	v_cndmask_b32_e32 v15, v21, v15, vcc_lo
	v_mul_f16_e32 v21, v29, v26
	s_delay_alu instid0(VALU_DEP_2) | instskip(NEXT) | instid1(VALU_DEP_2)
	v_and_b32_e32 v20, 7, v15
	v_fmac_f16_e32 v21, v28, v0
	v_lshrrev_b32_e32 v15, 2, v15
	v_mul_f16_e32 v0, v29, v0
	s_delay_alu instid0(VALU_DEP_4) | instskip(NEXT) | instid1(VALU_DEP_4)
	v_cmp_lt_i32_e32 vcc_lo, 5, v20
	v_cvt_f32_f16_e32 v4, v21
	v_mul_f64_e32 v[5:6], s[12:13], v[17:18]
	v_lshrrev_b32_e32 v17, 8, v16
	v_bfe_u32 v18, v16, 20, 11
	v_fma_f16 v0, v28, v26, -v0
	v_lshrrev_b32_e32 v16, 16, v16
	s_delay_alu instid0(VALU_DEP_4) | instskip(NEXT) | instid1(VALU_DEP_4)
	v_and_or_b32 v17, 0xffe, v17, v13
	v_sub_nc_u32_e32 v13, 0x3f1, v18
	v_add_nc_u32_e32 v18, 0xfffffc10, v18
	v_cvt_f32_f16_e32 v0, v0
	s_delay_alu instid0(VALU_DEP_4) | instskip(NEXT) | instid1(VALU_DEP_4)
	v_or_b32_e32 v25, 0x1000, v17
	v_med3_i32 v13, v13, 0, 13
	s_delay_alu instid0(VALU_DEP_1) | instskip(NEXT) | instid1(VALU_DEP_1)
	v_lshrrev_b32_e32 v27, v13, v25
	v_lshlrev_b32_e32 v13, v13, v27
	s_delay_alu instid0(VALU_DEP_1)
	v_cmp_ne_u32_e64 s0, v13, v25
	scratch_load_b32 v25, off, off offset:4 th:TH_LOAD_LU ; 4-byte Folded Reload
	v_cvt_f64_f32_e32 v[13:14], v4
	s_wait_alu 0xf1ff
	v_cndmask_b32_e64 v7, 0, 1, s0
	v_cmp_eq_u32_e64 s0, 3, v20
	v_lshl_or_b32 v20, v18, 12, v17
	s_delay_alu instid0(VALU_DEP_3) | instskip(SKIP_1) | instid1(VALU_DEP_4)
	v_or_b32_e32 v7, v27, v7
	v_and_or_b32 v19, 0x1ff, v6, v5
	s_or_b32 vcc_lo, s0, vcc_lo
	v_mul_f64_e32 v[4:5], s[12:13], v[9:10]
	s_wait_alu 0xfffe
	v_add_co_ci_u32_e32 v15, vcc_lo, 0, v15, vcc_lo
	v_cmp_ne_u32_e64 s1, 0, v19
	v_cmp_gt_i32_e32 vcc_lo, 1, v18
	v_lshrrev_b32_e32 v10, 8, v6
	v_bfe_u32 v19, v6, 20, 11
	s_wait_alu 0xf1ff
	v_cndmask_b32_e64 v9, 0, 1, s1
	s_wait_alu 0xfffd
	v_cndmask_b32_e32 v7, v20, v7, vcc_lo
	v_cmp_ne_u32_e32 vcc_lo, 0, v11
	v_cmp_eq_u32_e64 s1, 0x40f, v22
	v_and_or_b32 v20, 0xffe, v10, v9
	v_sub_nc_u32_e32 v9, 0x3f1, v19
	s_wait_alu 0xfffd
	v_cndmask_b32_e64 v10, 0, 1, vcc_lo
	v_and_b32_e32 v11, 7, v7
	v_cmp_gt_i32_e32 vcc_lo, 31, v22
	v_or_b32_e32 v21, 0x1000, v20
	v_med3_i32 v9, v9, 0, 13
	v_lshrrev_b32_e32 v7, 2, v7
	v_cmp_eq_u32_e64 s0, 3, v11
	s_wait_alu 0xfffd
	v_cndmask_b32_e32 v15, 0x7c00, v15, vcc_lo
	v_cmp_lt_i32_e32 vcc_lo, 5, v11
	v_lshl_or_b32 v10, v10, 9, 0x7c00
	v_lshrrev_b32_e32 v23, v9, v21
	s_or_b32 vcc_lo, s0, vcc_lo
	s_delay_alu instid0(VALU_DEP_2)
	v_cndmask_b32_e64 v11, v15, v10, s1
	s_wait_alu 0xfffe
	v_add_co_ci_u32_e32 v7, vcc_lo, 0, v7, vcc_lo
	v_lshlrev_b32_e32 v15, v9, v23
	v_cmp_ne_u32_e32 vcc_lo, 0, v17
	v_mul_f64_e32 v[9:10], s[12:13], v[13:14]
	s_wait_alu 0xfffd
	v_cndmask_b32_e64 v17, 0, 1, vcc_lo
	v_cmp_ne_u32_e32 vcc_lo, v15, v21
	v_add_nc_u32_e32 v15, 0xfffffc10, v19
	v_and_or_b32 v4, 0x1ff, v5, v4
	v_and_or_b32 v19, 0x8000, v12, v11
	v_lshl_or_b32 v14, v17, 9, 0x7c00
	s_wait_alu 0xfffd
	v_cndmask_b32_e64 v13, 0, 1, vcc_lo
	v_cmp_gt_i32_e32 vcc_lo, 31, v18
	v_lshl_or_b32 v17, v15, 12, v20
	v_cvt_f64_f32_e32 v[11:12], v0
	v_lshrrev_b32_e32 v21, 16, v8
	v_or_b32_e32 v13, v23, v13
	s_wait_alu 0xfffd
	v_cndmask_b32_e32 v7, 0x7c00, v7, vcc_lo
	v_cmp_gt_i32_e32 vcc_lo, 1, v15
	v_bfe_u32 v0, v5, 20, 11
	v_and_b32_e32 v19, 0xffff, v19
	s_wait_alu 0xfffd
	v_cndmask_b32_e32 v13, v17, v13, vcc_lo
	v_cmp_ne_u32_e32 vcc_lo, 0, v4
	v_lshrrev_b32_e32 v17, 8, v5
	v_lshrrev_b32_e32 v5, 16, v5
	s_wait_alu 0xfffd
	v_cndmask_b32_e64 v4, 0, 1, vcc_lo
	v_cmp_eq_u32_e32 vcc_lo, 0x40f, v18
	s_delay_alu instid0(VALU_DEP_2) | instskip(SKIP_3) | instid1(VALU_DEP_3)
	v_and_or_b32 v4, 0xffe, v17, v4
	s_wait_alu 0xfffd
	v_dual_cndmask_b32 v7, v7, v14 :: v_dual_and_b32 v14, 7, v13
	v_sub_nc_u32_e32 v17, 0x3f1, v0
	v_or_b32_e32 v22, 0x1000, v4
	s_delay_alu instid0(VALU_DEP_3) | instskip(NEXT) | instid1(VALU_DEP_4)
	v_and_or_b32 v16, 0x8000, v16, v7
	v_cmp_lt_i32_e32 vcc_lo, 5, v14
	v_cmp_eq_u32_e64 s0, 3, v14
	v_lshrrev_b32_e32 v7, 2, v13
	v_med3_i32 v17, v17, 0, 13
	v_and_or_b32 v9, 0x1ff, v10, v9
	v_lshl_or_b32 v16, v16, 16, v19
	s_or_b32 vcc_lo, s0, vcc_lo
	s_delay_alu instid0(VALU_DEP_3) | instskip(SKIP_2) | instid1(VALU_DEP_1)
	v_lshrrev_b32_e32 v23, v17, v22
	s_wait_loadcnt 0x0
	v_mul_f16_e32 v18, v25, v21
	v_fmac_f16_e32 v18, v24, v8
	v_mul_f16_e32 v8, v25, v8
	s_delay_alu instid0(VALU_DEP_2)
	v_cvt_f32_f16_e32 v13, v18
	s_wait_alu 0xfffe
	v_add_co_ci_u32_e32 v18, vcc_lo, 0, v7, vcc_lo
	v_cmp_ne_u32_e32 vcc_lo, 0, v20
	v_lshlrev_b32_e32 v7, v17, v23
	v_cvt_f64_f32_e32 v[13:14], v13
	v_fma_f16 v8, v24, v21, -v8
	v_lshrrev_b32_e32 v20, 8, v10
	s_wait_alu 0xfffd
	v_cndmask_b32_e64 v17, 0, 1, vcc_lo
	v_cmp_ne_u32_e32 vcc_lo, 0, v9
	v_add_nc_u32_e32 v24, 0xfffffc10, v0
	v_cvt_f32_f16_e32 v0, v8
	s_delay_alu instid0(VALU_DEP_4)
	v_lshl_or_b32 v17, v17, 9, 0x7c00
	s_wait_alu 0xfffd
	v_cndmask_b32_e64 v9, 0, 1, vcc_lo
	v_cmp_ne_u32_e32 vcc_lo, v7, v22
	v_bfe_u32 v22, v10, 20, 11
	v_mul_f64_e32 v[7:8], s[12:13], v[11:12]
	v_cvt_f64_f32_e32 v[11:12], v0
	v_and_or_b32 v9, 0xffe, v20, v9
	s_wait_alu 0xfffd
	v_cndmask_b32_e64 v21, 0, 1, vcc_lo
	v_sub_nc_u32_e32 v20, 0x3f1, v22
	v_cmp_gt_i32_e32 vcc_lo, 31, v15
	v_lshrrev_b32_e32 v10, 16, v10
	v_or_b32_e32 v25, 0x1000, v9
	v_or_b32_e32 v21, v23, v21
	v_lshl_or_b32 v23, v24, 12, v4
	v_med3_i32 v20, v20, 0, 13
	s_wait_alu 0xfffd
	v_cndmask_b32_e32 v18, 0x7c00, v18, vcc_lo
	v_cmp_gt_i32_e32 vcc_lo, 1, v24
	s_delay_alu instid0(VALU_DEP_3)
	v_lshrrev_b32_e32 v26, v20, v25
	s_wait_alu 0xfffd
	v_cndmask_b32_e32 v21, v23, v21, vcc_lo
	v_add_co_u32 v0, vcc_lo, v1, s10
	s_wait_alu 0xfffd
	v_add_co_ci_u32_e32 v1, vcc_lo, s11, v2, vcc_lo
	v_lshlrev_b32_e32 v2, v20, v26
	v_and_b32_e32 v20, 7, v21
	v_cmp_eq_u32_e32 vcc_lo, 0x40f, v15
	v_mul_f64_e32 v[13:14], s[12:13], v[13:14]
	s_delay_alu instid0(VALU_DEP_4) | instskip(NEXT) | instid1(VALU_DEP_4)
	v_cmp_ne_u32_e64 s1, v2, v25
	v_cmp_eq_u32_e64 s0, 3, v20
	s_wait_alu 0xfffd
	v_cndmask_b32_e32 v15, v18, v17, vcc_lo
	v_cmp_lt_i32_e32 vcc_lo, 5, v20
	v_lshrrev_b32_e32 v17, 16, v6
	v_lshrrev_b32_e32 v6, 2, v21
	s_wait_alu 0xf1ff
	v_cndmask_b32_e64 v2, 0, 1, s1
	v_add_nc_u32_e32 v18, 0xfffffc10, v22
	s_or_b32 vcc_lo, s0, vcc_lo
	v_and_or_b32 v15, 0x8000, v17, v15
	s_wait_alu 0xfffe
	v_add_co_ci_u32_e32 v6, vcc_lo, 0, v6, vcc_lo
	v_cmp_ne_u32_e32 vcc_lo, 0, v4
	v_and_or_b32 v21, 0x1ff, v8, v7
	v_or_b32_e32 v2, v26, v2
	v_lshl_or_b32 v19, v18, 12, v9
	v_bfe_u32 v22, v8, 20, 11
	s_wait_alu 0xfffd
	v_cndmask_b32_e64 v4, 0, 1, vcc_lo
	v_cmp_gt_i32_e32 vcc_lo, 31, v24
	v_and_b32_e32 v15, 0xffff, v15
	s_delay_alu instid0(VALU_DEP_3)
	v_lshl_or_b32 v4, v4, 9, 0x7c00
	s_wait_alu 0xfffd
	v_cndmask_b32_e32 v20, 0x7c00, v6, vcc_lo
	v_mul_f64_e32 v[6:7], s[12:13], v[11:12]
	v_add_co_u32 v11, vcc_lo, v0, s10
	s_wait_alu 0xfffd
	v_add_co_ci_u32_e32 v12, vcc_lo, s11, v1, vcc_lo
	v_cmp_gt_i32_e32 vcc_lo, 1, v18
	s_wait_alu 0xfffd
	v_cndmask_b32_e32 v2, v19, v2, vcc_lo
	v_cmp_ne_u32_e32 vcc_lo, 0, v21
	v_lshrrev_b32_e32 v21, 8, v8
	v_and_or_b32 v13, 0x1ff, v14, v13
	v_bfe_u32 v23, v14, 20, 11
	v_lshrrev_b32_e32 v8, 16, v8
	s_wait_alu 0xfffd
	v_cndmask_b32_e64 v19, 0, 1, vcc_lo
	v_cmp_eq_u32_e32 vcc_lo, 0x40f, v24
	s_delay_alu instid0(VALU_DEP_2)
	v_and_or_b32 v19, 0xffe, v21, v19
	s_wait_alu 0xfffd
	v_cndmask_b32_e32 v4, v20, v4, vcc_lo
	v_and_b32_e32 v20, 7, v2
	v_sub_nc_u32_e32 v21, 0x3f1, v22
	v_lshrrev_b32_e32 v2, 2, v2
	s_delay_alu instid0(VALU_DEP_4) | instskip(NEXT) | instid1(VALU_DEP_4)
	v_and_or_b32 v4, 0x8000, v5, v4
	v_cmp_lt_i32_e32 vcc_lo, 5, v20
	v_cmp_eq_u32_e64 s0, 3, v20
	v_or_b32_e32 v5, 0x1000, v19
	v_med3_i32 v17, v21, 0, 13
	v_lshrrev_b32_e32 v21, 8, v14
	s_delay_alu instid0(VALU_DEP_4)
	s_or_b32 vcc_lo, s0, vcc_lo
	s_wait_alu 0xfffe
	v_add_co_ci_u32_e32 v2, vcc_lo, 0, v2, vcc_lo
	v_lshrrev_b32_e32 v20, v17, v5
	v_cmp_ne_u32_e32 vcc_lo, 0, v13
	v_and_or_b32 v6, 0x1ff, v7, v6
	v_lshrrev_b32_e32 v24, 8, v7
	v_bfe_u32 v25, v7, 20, 11
	v_lshlrev_b32_e32 v17, v17, v20
	s_wait_alu 0xfffd
	v_cndmask_b32_e64 v13, 0, 1, vcc_lo
	v_cmp_ne_u32_e32 vcc_lo, 0, v9
	v_lshrrev_b32_e32 v7, 16, v7
	s_delay_alu instid0(VALU_DEP_3)
	v_and_or_b32 v13, 0xffe, v21, v13
	s_wait_alu 0xfffd
	v_cndmask_b32_e64 v9, 0, 1, vcc_lo
	v_cmp_ne_u32_e32 vcc_lo, v17, v5
	v_sub_nc_u32_e32 v21, 0x3f1, v23
	v_add_nc_u32_e32 v17, 0xfffffc10, v22
	v_or_b32_e32 v22, 0x1000, v13
	v_lshl_or_b32 v9, v9, 9, 0x7c00
	s_wait_alu 0xfffd
	v_cndmask_b32_e64 v5, 0, 1, vcc_lo
	v_cmp_gt_i32_e32 vcc_lo, 31, v18
	v_med3_i32 v21, v21, 0, 13
	s_delay_alu instid0(VALU_DEP_3)
	v_or_b32_e32 v5, v20, v5
	s_wait_alu 0xfffd
	v_cndmask_b32_e32 v2, 0x7c00, v2, vcc_lo
	v_cmp_ne_u32_e32 vcc_lo, 0, v6
	v_lshl_or_b32 v20, v17, 12, v19
	v_lshrrev_b32_e32 v26, v21, v22
	s_wait_alu 0xfffd
	v_cndmask_b32_e64 v6, 0, 1, vcc_lo
	v_cmp_gt_i32_e32 vcc_lo, 1, v17
	s_delay_alu instid0(VALU_DEP_2)
	v_and_or_b32 v6, 0xffe, v24, v6
	v_sub_nc_u32_e32 v24, 0x3f1, v25
	s_wait_alu 0xfffd
	v_dual_cndmask_b32 v5, v20, v5 :: v_dual_lshlrev_b32 v20, v21, v26
	v_cmp_eq_u32_e32 vcc_lo, 0x40f, v18
	v_or_b32_e32 v21, 0x1000, v6
	v_med3_i32 v24, v24, 0, 13
	v_add_nc_u32_e32 v18, 0xfffffc10, v23
	v_and_b32_e32 v27, 7, v5
	s_wait_alu 0xfffd
	v_cndmask_b32_e32 v2, v2, v9, vcc_lo
	v_cmp_ne_u32_e32 vcc_lo, v20, v22
	v_lshrrev_b32_e32 v20, v24, v21
	v_lshl_or_b32 v22, v18, 12, v13
	v_cmp_gt_i32_e64 s1, 1, v18
	v_cmp_eq_u32_e64 s0, 3, v27
	s_wait_alu 0xfffd
	v_cndmask_b32_e64 v9, 0, 1, vcc_lo
	v_lshlrev_b32_e32 v23, v24, v20
	v_cmp_lt_i32_e32 vcc_lo, 5, v27
	v_lshrrev_b32_e32 v5, 2, v5
	v_and_or_b32 v2, 0x8000, v10, v2
	v_or_b32_e32 v9, v26, v9
	s_or_b32 vcc_lo, s0, vcc_lo
	s_wait_alu 0xfffe
	v_add_co_ci_u32_e32 v5, vcc_lo, 0, v5, vcc_lo
	s_delay_alu instid0(VALU_DEP_2)
	v_cndmask_b32_e64 v9, v22, v9, s1
	v_cmp_ne_u32_e64 s1, v23, v21
	v_add_nc_u32_e32 v22, 0xfffffc10, v25
	v_cmp_ne_u32_e32 vcc_lo, 0, v19
	v_and_b32_e32 v2, 0xffff, v2
	v_and_b32_e32 v23, 7, v9
	s_wait_alu 0xf1ff
	v_cndmask_b32_e64 v21, 0, 1, s1
	v_cmp_gt_i32_e64 s0, 1, v22
	s_wait_alu 0xfffd
	v_cndmask_b32_e64 v19, 0, 1, vcc_lo
	v_lshrrev_b32_e32 v9, 2, v9
	v_cmp_lt_i32_e32 vcc_lo, 5, v23
	v_or_b32_e32 v20, v20, v21
	v_lshl_or_b32 v21, v22, 12, v6
	v_cmp_gt_i32_e64 s1, 31, v17
	v_lshl_or_b32 v19, v19, 9, 0x7c00
	s_wait_alu 0xf1ff
	s_delay_alu instid0(VALU_DEP_3) | instskip(SKIP_3) | instid1(VALU_DEP_4)
	v_cndmask_b32_e64 v10, v21, v20, s0
	v_cmp_eq_u32_e64 s0, 3, v23
	v_cndmask_b32_e64 v5, 0x7c00, v5, s1
	v_cmp_eq_u32_e64 s1, 0x40f, v17
	v_and_b32_e32 v20, 7, v10
	s_delay_alu instid0(VALU_DEP_4)
	s_or_b32 vcc_lo, s0, vcc_lo
	v_lshrrev_b32_e32 v10, 2, v10
	s_wait_alu 0xfffe
	v_add_co_ci_u32_e32 v9, vcc_lo, 0, v9, vcc_lo
	v_cmp_ne_u32_e32 vcc_lo, 0, v13
	v_cmp_eq_u32_e64 s0, 3, v20
	v_cndmask_b32_e64 v5, v5, v19, s1
	v_cmp_gt_i32_e64 s1, 31, v18
	s_wait_alu 0xfffd
	v_cndmask_b32_e64 v13, 0, 1, vcc_lo
	v_cmp_lt_i32_e32 vcc_lo, 5, v20
	v_and_or_b32 v8, 0x8000, v8, v5
	s_wait_alu 0xf1ff
	v_cndmask_b32_e64 v9, 0x7c00, v9, s1
	v_lshl_or_b32 v13, v13, 9, 0x7c00
	s_or_b32 vcc_lo, s0, vcc_lo
	v_lshl_or_b32 v2, v8, 16, v2
	s_wait_alu 0xfffe
	v_add_co_ci_u32_e32 v10, vcc_lo, 0, v10, vcc_lo
	v_cmp_ne_u32_e32 vcc_lo, 0, v6
	s_wait_alu 0xfffd
	v_cndmask_b32_e64 v6, 0, 1, vcc_lo
	v_cmp_eq_u32_e32 vcc_lo, 0x40f, v18
	s_delay_alu instid0(VALU_DEP_2)
	v_lshl_or_b32 v6, v6, 9, 0x7c00
	s_wait_alu 0xfffd
	v_cndmask_b32_e32 v9, v9, v13, vcc_lo
	v_cmp_gt_i32_e32 vcc_lo, 31, v22
	v_lshrrev_b32_e32 v13, 16, v14
	v_lshl_or_b32 v14, v4, 16, v15
	s_wait_alu 0xfffd
	v_cndmask_b32_e32 v10, 0x7c00, v10, vcc_lo
	v_cmp_eq_u32_e32 vcc_lo, 0x40f, v22
	v_and_or_b32 v9, 0x8000, v13, v9
	s_wait_alu 0xfffd
	s_delay_alu instid0(VALU_DEP_3) | instskip(SKIP_3) | instid1(VALU_DEP_3)
	v_cndmask_b32_e32 v6, v10, v6, vcc_lo
	v_add_co_u32 v4, vcc_lo, v11, s10
	s_wait_alu 0xfffd
	v_add_co_ci_u32_e32 v5, vcc_lo, s11, v12, vcc_lo
	v_and_or_b32 v8, 0x8000, v7, v6
	v_and_b32_e32 v9, 0xffff, v9
	v_add_co_u32 v6, vcc_lo, v4, s10
	s_wait_alu 0xfffd
	v_add_co_ci_u32_e32 v7, vcc_lo, s11, v5, vcc_lo
	s_delay_alu instid0(VALU_DEP_3) | instskip(NEXT) | instid1(VALU_DEP_3)
	v_lshl_or_b32 v10, v8, 16, v9
	v_add_co_u32 v8, vcc_lo, v6, s10
	s_wait_alu 0xfffd
	s_delay_alu instid0(VALU_DEP_3)
	v_add_co_ci_u32_e32 v9, vcc_lo, s11, v7, vcc_lo
	global_store_b32 v[0:1], v3, off
	global_store_b32 v[11:12], v16, off
	;; [unrolled: 1-line block ×5, first 2 shown]
.LBB0_2:
	s_nop 0
	s_sendmsg sendmsg(MSG_DEALLOC_VGPRS)
	s_endpgm
	.section	.rodata,"a",@progbits
	.p2align	6, 0x0
	.amdhsa_kernel bluestein_single_back_len3600_dim1_half_op_CI_CI
		.amdhsa_group_segment_fixed_size 14400
		.amdhsa_private_segment_fixed_size 232
		.amdhsa_kernarg_size 104
		.amdhsa_user_sgpr_count 2
		.amdhsa_user_sgpr_dispatch_ptr 0
		.amdhsa_user_sgpr_queue_ptr 0
		.amdhsa_user_sgpr_kernarg_segment_ptr 1
		.amdhsa_user_sgpr_dispatch_id 0
		.amdhsa_user_sgpr_private_segment_size 0
		.amdhsa_wavefront_size32 1
		.amdhsa_uses_dynamic_stack 0
		.amdhsa_enable_private_segment 1
		.amdhsa_system_sgpr_workgroup_id_x 1
		.amdhsa_system_sgpr_workgroup_id_y 0
		.amdhsa_system_sgpr_workgroup_id_z 0
		.amdhsa_system_sgpr_workgroup_info 0
		.amdhsa_system_vgpr_workitem_id 0
		.amdhsa_next_free_vgpr 256
		.amdhsa_next_free_sgpr 20
		.amdhsa_reserve_vcc 1
		.amdhsa_float_round_mode_32 0
		.amdhsa_float_round_mode_16_64 0
		.amdhsa_float_denorm_mode_32 3
		.amdhsa_float_denorm_mode_16_64 3
		.amdhsa_fp16_overflow 0
		.amdhsa_workgroup_processor_mode 1
		.amdhsa_memory_ordered 1
		.amdhsa_forward_progress 0
		.amdhsa_round_robin_scheduling 0
		.amdhsa_exception_fp_ieee_invalid_op 0
		.amdhsa_exception_fp_denorm_src 0
		.amdhsa_exception_fp_ieee_div_zero 0
		.amdhsa_exception_fp_ieee_overflow 0
		.amdhsa_exception_fp_ieee_underflow 0
		.amdhsa_exception_fp_ieee_inexact 0
		.amdhsa_exception_int_div_zero 0
	.end_amdhsa_kernel
	.text
.Lfunc_end0:
	.size	bluestein_single_back_len3600_dim1_half_op_CI_CI, .Lfunc_end0-bluestein_single_back_len3600_dim1_half_op_CI_CI
                                        ; -- End function
	.section	.AMDGPU.csdata,"",@progbits
; Kernel info:
; codeLenInByte = 58884
; NumSgprs: 22
; NumVgprs: 256
; ScratchSize: 232
; MemoryBound: 0
; FloatMode: 240
; IeeeMode: 1
; LDSByteSize: 14400 bytes/workgroup (compile time only)
; SGPRBlocks: 2
; VGPRBlocks: 31
; NumSGPRsForWavesPerEU: 22
; NumVGPRsForWavesPerEU: 256
; Occupancy: 5
; WaveLimiterHint : 1
; COMPUTE_PGM_RSRC2:SCRATCH_EN: 1
; COMPUTE_PGM_RSRC2:USER_SGPR: 2
; COMPUTE_PGM_RSRC2:TRAP_HANDLER: 0
; COMPUTE_PGM_RSRC2:TGID_X_EN: 1
; COMPUTE_PGM_RSRC2:TGID_Y_EN: 0
; COMPUTE_PGM_RSRC2:TGID_Z_EN: 0
; COMPUTE_PGM_RSRC2:TIDIG_COMP_CNT: 0
	.text
	.p2alignl 7, 3214868480
	.fill 96, 4, 3214868480
	.type	__hip_cuid_df4e8fd0d94f5399,@object ; @__hip_cuid_df4e8fd0d94f5399
	.section	.bss,"aw",@nobits
	.globl	__hip_cuid_df4e8fd0d94f5399
__hip_cuid_df4e8fd0d94f5399:
	.byte	0                               ; 0x0
	.size	__hip_cuid_df4e8fd0d94f5399, 1

	.ident	"AMD clang version 19.0.0git (https://github.com/RadeonOpenCompute/llvm-project roc-6.4.0 25133 c7fe45cf4b819c5991fe208aaa96edf142730f1d)"
	.section	".note.GNU-stack","",@progbits
	.addrsig
	.addrsig_sym __hip_cuid_df4e8fd0d94f5399
	.amdgpu_metadata
---
amdhsa.kernels:
  - .args:
      - .actual_access:  read_only
        .address_space:  global
        .offset:         0
        .size:           8
        .value_kind:     global_buffer
      - .actual_access:  read_only
        .address_space:  global
        .offset:         8
        .size:           8
        .value_kind:     global_buffer
      - .actual_access:  read_only
        .address_space:  global
        .offset:         16
        .size:           8
        .value_kind:     global_buffer
      - .actual_access:  read_only
        .address_space:  global
        .offset:         24
        .size:           8
        .value_kind:     global_buffer
      - .actual_access:  read_only
        .address_space:  global
        .offset:         32
        .size:           8
        .value_kind:     global_buffer
      - .offset:         40
        .size:           8
        .value_kind:     by_value
      - .address_space:  global
        .offset:         48
        .size:           8
        .value_kind:     global_buffer
      - .address_space:  global
        .offset:         56
        .size:           8
        .value_kind:     global_buffer
      - .address_space:  global
        .offset:         64
        .size:           8
        .value_kind:     global_buffer
      - .address_space:  global
        .offset:         72
        .size:           8
        .value_kind:     global_buffer
      - .offset:         80
        .size:           4
        .value_kind:     by_value
      - .address_space:  global
        .offset:         88
        .size:           8
        .value_kind:     global_buffer
      - .address_space:  global
        .offset:         96
        .size:           8
        .value_kind:     global_buffer
    .group_segment_fixed_size: 14400
    .kernarg_segment_align: 8
    .kernarg_segment_size: 104
    .language:       OpenCL C
    .language_version:
      - 2
      - 0
    .max_flat_workgroup_size: 120
    .name:           bluestein_single_back_len3600_dim1_half_op_CI_CI
    .private_segment_fixed_size: 232
    .sgpr_count:     22
    .sgpr_spill_count: 0
    .symbol:         bluestein_single_back_len3600_dim1_half_op_CI_CI.kd
    .uniform_work_group_size: 1
    .uses_dynamic_stack: false
    .vgpr_count:     256
    .vgpr_spill_count: 57
    .wavefront_size: 32
    .workgroup_processor_mode: 1
amdhsa.target:   amdgcn-amd-amdhsa--gfx1201
amdhsa.version:
  - 1
  - 2
...

	.end_amdgpu_metadata
